;; amdgpu-corpus repo=ROCm/rocFFT kind=compiled arch=gfx950 opt=O3
	.text
	.amdgcn_target "amdgcn-amd-amdhsa--gfx950"
	.amdhsa_code_object_version 6
	.protected	bluestein_single_fwd_len1700_dim1_sp_op_CI_CI ; -- Begin function bluestein_single_fwd_len1700_dim1_sp_op_CI_CI
	.globl	bluestein_single_fwd_len1700_dim1_sp_op_CI_CI
	.p2align	8
	.type	bluestein_single_fwd_len1700_dim1_sp_op_CI_CI,@function
bluestein_single_fwd_len1700_dim1_sp_op_CI_CI: ; @bluestein_single_fwd_len1700_dim1_sp_op_CI_CI
; %bb.0:
	s_load_dwordx4 s[8:11], s[0:1], 0x28
	v_mul_u32_u24_e32 v1, 0x182, v0
	v_add_u32_sdwa v2, s2, v1 dst_sel:DWORD dst_unused:UNUSED_PAD src0_sel:DWORD src1_sel:WORD_1
	v_mov_b32_e32 v3, 0
	v_accvgpr_write_b32 a0, v2
	s_waitcnt lgkmcnt(0)
	v_cmp_gt_u64_e32 vcc, s[8:9], v[2:3]
	s_and_saveexec_b64 s[2:3], vcc
	s_cbranch_execz .LBB0_15
; %bb.1:
	s_load_dwordx2 s[8:9], s[0:1], 0x0
	s_load_dwordx2 s[12:13], s[0:1], 0x38
	s_movk_i32 s2, 0xaa
	v_mul_lo_u16_sdwa v1, v1, s2 dst_sel:DWORD dst_unused:UNUSED_PAD src0_sel:WORD_1 src1_sel:DWORD
	v_sub_u16_e32 v72, v0, v1
	s_movk_i32 s2, 0x64
	v_cmp_gt_u16_e64 s[2:3], s2, v72
	v_lshlrev_b32_e32 v64, 3, v72
	s_and_saveexec_b64 s[14:15], s[2:3]
	s_cbranch_execz .LBB0_3
; %bb.2:
	s_load_dwordx2 s[4:5], s[0:1], 0x18
	v_accvgpr_read_b32 v10, a0
	v_mov_b32_e32 v0, s10
	v_mov_b32_e32 v1, s11
	;; [unrolled: 1-line block ×3, first 2 shown]
	s_waitcnt lgkmcnt(0)
	s_load_dwordx4 s[4:7], s[4:5], 0x0
	v_mov_b32_e32 v65, 0
	v_lshl_add_u64 v[20:21], s[8:9], 0, v[64:65]
	s_waitcnt lgkmcnt(0)
	v_mad_u64_u32 v[2:3], s[10:11], s6, v10, 0
	v_mad_u64_u32 v[4:5], s[10:11], s4, v72, 0
	v_mov_b32_e32 v6, v3
	v_mov_b32_e32 v8, v5
	v_mad_u64_u32 v[6:7], s[6:7], s7, v10, v[6:7]
	v_mov_b32_e32 v3, v6
	v_mad_u64_u32 v[6:7], s[6:7], s5, v72, v[8:9]
	v_mov_b32_e32 v5, v6
	v_lshl_add_u64 v[0:1], v[2:3], 3, v[0:1]
	v_lshl_add_u64 v[4:5], v[4:5], 3, v[0:1]
	v_mad_u64_u32 v[8:9], s[6:7], s4, v70, v[4:5]
	s_mulk_i32 s5, 0x320
	v_add_u32_e32 v9, s5, v9
	v_mad_u64_u32 v[10:11], s[6:7], s4, v70, v[8:9]
	v_add_u32_e32 v11, s5, v11
	v_mad_u64_u32 v[18:19], s[6:7], s4, v70, v[10:11]
	s_movk_i32 s6, 0x1000
	s_nop 0
	v_add_co_u32_e32 v22, vcc, s6, v20
	v_add_u32_e32 v19, s5, v19
	s_movk_i32 s7, 0x2000
	v_addc_co_u32_e32 v23, vcc, 0, v21, vcc
	global_load_dwordx2 v[0:1], v[4:5], off
	global_load_dwordx2 v[2:3], v64, s[8:9]
	s_nop 0
	global_load_dwordx2 v[4:5], v[8:9], off
	global_load_dwordx2 v[6:7], v[10:11], off
	global_load_dwordx2 v[12:13], v64, s[8:9] offset:800
	s_nop 0
	global_load_dwordx2 v[10:11], v64, s[8:9] offset:1600
	global_load_dwordx2 v[8:9], v64, s[8:9] offset:2400
	;; [unrolled: 1-line block ×4, first 2 shown]
	v_add_co_u32_e32 v24, vcc, s7, v20
	global_load_dwordx2 v[26:27], v[18:19], off
	v_mad_u64_u32 v[18:19], s[6:7], s4, v70, v[18:19]
	v_add_u32_e32 v19, s5, v19
	global_load_dwordx2 v[28:29], v[18:19], off
	v_mad_u64_u32 v[18:19], s[6:7], s4, v70, v[18:19]
	v_add_u32_e32 v19, s5, v19
	global_load_dwordx2 v[30:31], v[18:19], off
	global_load_dwordx2 v[32:33], v[22:23], off offset:704
	global_load_dwordx2 v[34:35], v[22:23], off offset:1504
	;; [unrolled: 1-line block ×4, first 2 shown]
	v_mad_u64_u32 v[18:19], s[6:7], s4, v70, v[18:19]
	v_add_u32_e32 v19, s5, v19
	global_load_dwordx2 v[40:41], v[18:19], off
	v_mad_u64_u32 v[18:19], s[6:7], s4, v70, v[18:19]
	v_add_u32_e32 v19, s5, v19
	v_addc_co_u32_e32 v25, vcc, 0, v21, vcc
	global_load_dwordx2 v[42:43], v[18:19], off
	global_load_dwordx2 v[44:45], v[24:25], off offset:3008
	global_load_dwordx2 v[46:47], v[24:25], off offset:3808
	v_mad_u64_u32 v[18:19], s[6:7], s4, v70, v[18:19]
	v_add_u32_e32 v19, s5, v19
	global_load_dwordx2 v[48:49], v[18:19], off
	v_mad_u64_u32 v[18:19], s[6:7], s4, v70, v[18:19]
	v_add_u32_e32 v19, s5, v19
	global_load_dwordx2 v[50:51], v[18:19], off
	;; [unrolled: 3-line block ×3, first 2 shown]
	global_load_dwordx2 v[54:55], v[22:23], off offset:3904
	v_mad_u64_u32 v[18:19], s[6:7], s4, v70, v[18:19]
	v_add_u32_e32 v19, s5, v19
	global_load_dwordx2 v[22:23], v[18:19], off
	global_load_dwordx2 v[56:57], v[24:25], off offset:608
	v_mad_u64_u32 v[18:19], s[6:7], s4, v70, v[18:19]
	v_add_u32_e32 v19, s5, v19
	global_load_dwordx2 v[58:59], v[18:19], off
	;; [unrolled: 4-line block ×4, first 2 shown]
	v_mad_u64_u32 v[18:19], s[6:7], s4, v70, v[18:19]
	v_add_u32_e32 v19, s5, v19
	v_add_co_u32_e32 v20, vcc, 0x3000, v20
	global_load_dwordx2 v[68:69], v[18:19], off
	v_mad_u64_u32 v[18:19], s[6:7], s4, v70, v[18:19]
	v_addc_co_u32_e32 v21, vcc, 0, v21, vcc
	v_add_u32_e32 v19, s5, v19
	global_load_dwordx2 v[20:21], v[20:21], off offset:512
	s_waitcnt vmcnt(31)
	v_mul_f32_e32 v65, v0, v3
	global_load_dwordx2 v[18:19], v[18:19], off
	v_mul_f32_e32 v70, v1, v3
	v_fma_f32 v71, v1, v2, -v65
	v_fmac_f32_e32 v70, v0, v2
	s_waitcnt vmcnt(29)
	v_mul_f32_e32 v0, v5, v13
	v_mul_f32_e32 v1, v4, v13
	v_fmac_f32_e32 v0, v4, v12
	v_fma_f32 v1, v5, v12, -v1
	ds_write2_b64 v64, v[70:71], v[0:1] offset1:100
	s_waitcnt vmcnt(28)
	v_mul_f32_e32 v0, v7, v11
	v_mul_f32_e32 v1, v6, v11
	s_waitcnt vmcnt(24)
	v_mul_f32_e32 v2, v27, v9
	v_mul_f32_e32 v3, v26, v9
	v_fmac_f32_e32 v0, v6, v10
	v_fma_f32 v1, v7, v10, -v1
	v_fmac_f32_e32 v2, v26, v8
	v_fma_f32 v3, v27, v8, -v3
	v_add_u32_e32 v4, 0x400, v64
	ds_write2_b64 v4, v[0:1], v[2:3] offset0:72 offset1:172
	s_waitcnt vmcnt(23)
	v_mul_f32_e32 v0, v29, v15
	v_mul_f32_e32 v1, v28, v15
	s_waitcnt vmcnt(22)
	v_mul_f32_e32 v2, v31, v17
	v_mul_f32_e32 v3, v30, v17
	v_fmac_f32_e32 v0, v28, v14
	v_fma_f32 v1, v29, v14, -v1
	v_fmac_f32_e32 v2, v30, v16
	v_fma_f32 v3, v31, v16, -v3
	v_add_u32_e32 v4, 0x800, v64
	ds_write2_b64 v4, v[0:1], v[2:3] offset0:144 offset1:244
	;; [unrolled: 12-line block ×7, first 2 shown]
	s_waitcnt vmcnt(0)
	v_mul_f32_e32 v0, v19, v21
	v_mul_f32_e32 v1, v18, v21
	v_fmac_f32_e32 v0, v18, v20
	v_fma_f32 v1, v19, v20, -v1
	ds_write_b64 v64, v[0:1] offset:12800
.LBB0_3:
	s_or_b64 exec, exec, s[14:15]
	s_load_dwordx2 s[4:5], s[0:1], 0x20
	s_load_dwordx2 s[10:11], s[0:1], 0x8
	v_accvgpr_write_b32 a1, v72
	v_mov_b32_e32 v0, 0
	v_mov_b32_e32 v1, 0
	s_waitcnt lgkmcnt(0)
	s_barrier
	s_waitcnt lgkmcnt(0)
                                        ; implicit-def: $vgpr6
                                        ; implicit-def: $vgpr12
                                        ; implicit-def: $vgpr10
                                        ; implicit-def: $vgpr24
                                        ; implicit-def: $vgpr22
                                        ; implicit-def: $vgpr48
                                        ; implicit-def: $vgpr30
                                        ; implicit-def: $vgpr34
	s_and_saveexec_b64 s[0:1], s[2:3]
	s_cbranch_execz .LBB0_5
; %bb.4:
	v_add_u32_e32 v4, 0x400, v64
	ds_read2_b64 v[32:35], v4 offset0:72 offset1:172
	v_add_u32_e32 v4, 0x800, v64
	ds_read2_b64 v[20:23], v4 offset0:144 offset1:244
	v_add_u32_e32 v4, 0x1000, v64
	v_add_u32_e32 v16, 0x2400, v64
	ds_read2_b64 v[8:11], v4 offset0:88 offset1:188
	v_add_u32_e32 v4, 0x1800, v64
	;; [unrolled: 3-line block ×3, first 2 shown]
	ds_read2_b64 v[0:3], v64 offset1:100
	ds_read2_b64 v[4:7], v4 offset0:32 offset1:132
	ds_read2_b64 v[12:15], v12 offset0:104 offset1:204
	;; [unrolled: 1-line block ×3, first 2 shown]
	ds_read_b64 v[48:49], v64 offset:12800
.LBB0_5:
	s_or_b64 exec, exec, s[0:1]
	s_mov_b32 s6, 0xbf2c7751
	s_waitcnt lgkmcnt(0)
	v_pk_add_f32 v[50:51], v[48:49], v[2:3]
	v_pk_add_f32 v[16:17], v[2:3], v[48:49] neg_lo:[0,1] neg_hi:[0,1]
	s_mov_b32 s7, 0x3f3d2fb0
	v_mov_b32_e32 v45, v51
	v_mov_b32_e32 v51, v16
	s_mov_b32 s0, s7
	s_mov_b32 s1, s6
	v_mov_b32_e32 v44, v17
	v_pk_mul_f32 v[16:17], v[50:51], s[0:1]
	s_mov_b32 s0, 0xbf7ee86f
	v_pk_add_f32 v[72:73], v[30:31], v[32:33]
	v_pk_add_f32 v[58:59], v[32:33], v[30:31] neg_lo:[0,1] neg_hi:[0,1]
	s_mov_b32 s1, 0x3dbcf732
	v_mov_b32_e32 v62, v72
	v_mov_b32_e32 v63, v58
	s_mov_b32 s38, s1
	s_mov_b32 s39, s0
	v_accvgpr_write_b32 a4, v16
	v_pk_mul_f32 v[18:19], v[62:63], s[38:39]
	v_pk_fma_f32 v[36:37], v[44:45], s[6:7], v[16:17]
	v_accvgpr_write_b32 a5, v17
	v_pk_fma_f32 v[16:17], v[44:45], s[6:7], v[16:17] neg_lo:[0,0,1] neg_hi:[0,0,1]
	v_mov_b32_e32 v46, v59
	v_mov_b32_e32 v47, v73
	v_accvgpr_write_b32 a8, v18
	s_mov_b32 s14, 0xbf65296c
	v_pk_fma_f32 v[38:39], v[46:47], s[0:1], v[18:19]
	v_accvgpr_write_b32 a9, v19
	v_pk_fma_f32 v[18:19], v[46:47], s[0:1], v[18:19] neg_lo:[0,0,1] neg_hi:[0,0,1]
	s_mov_b32 s15, 0x3ee437d1
	v_mov_b32_e32 v16, v36
	s_mov_b32 s16, s15
	s_mov_b32 s17, s14
	v_pk_add_f32 v[16:17], v[16:17], v[0:1]
	v_mov_b32_e32 v18, v38
	v_pk_add_f32 v[16:17], v[18:19], v[16:17]
	v_pk_mul_f32 v[18:19], v[50:51], s[16:17]
	s_mov_b32 s16, 0xbf4c4adb
	s_mov_b32 s17, 0xbf1a4643
	v_accvgpr_write_b32 a16, v18
	v_accvgpr_write_b32 a7, v37
	s_mov_b32 s48, s17
	s_mov_b32 s49, s16
	v_pk_fma_f32 v[36:37], v[44:45], s[14:15], v[18:19]
	v_accvgpr_write_b32 a17, v19
	v_pk_fma_f32 v[18:19], v[44:45], s[14:15], v[18:19] neg_lo:[0,0,1] neg_hi:[0,0,1]
	v_accvgpr_write_b32 a19, v37
	v_mov_b32_e32 v18, v36
	v_pk_mul_f32 v[36:37], v[62:63], s[48:49]
	v_accvgpr_write_b32 a11, v39
	v_accvgpr_write_b32 a20, v36
	v_pk_fma_f32 v[38:39], v[46:47], s[16:17], v[36:37]
	v_accvgpr_write_b32 a21, v37
	v_pk_fma_f32 v[36:37], v[46:47], s[16:17], v[36:37] neg_lo:[0,0,1] neg_hi:[0,0,1]
	v_pk_add_f32 v[18:19], v[18:19], v[0:1]
	v_mov_b32_e32 v36, v38
	v_pk_add_f32 v[56:57], v[34:35], v[28:29] neg_lo:[0,1] neg_hi:[0,1]
	v_pk_add_f32 v[18:19], v[36:37], v[18:19]
	s_mov_b32 s42, s17
	v_pk_add_f32 v[54:55], v[28:29], v[34:35]
	v_pk_mul_f32 v[36:37], v[56:57], s[16:17] op_sel_hi:[1,0]
	v_accvgpr_write_b32 a23, v39
	v_pk_fma_f32 v[38:39], v[54:55], s[42:43], v[36:37] op_sel:[0,0,1] op_sel_hi:[1,0,0]
	v_pk_fma_f32 v[84:85], v[54:55], s[42:43], v[36:37] op_sel:[0,0,1] op_sel_hi:[1,0,0] neg_lo:[0,0,1] neg_hi:[0,0,1]
	v_mov_b32_e32 v36, v38
	v_mov_b32_e32 v37, v85
	s_mov_b32 s18, 0x3e3c28d5
	v_pk_add_f32 v[16:17], v[36:37], v[16:17]
	s_mov_b32 s30, 0xbf7ba420
	v_pk_mul_f32 v[36:37], v[56:57], s[18:19] op_sel_hi:[1,0]
	v_accvgpr_write_b32 a13, v39
	v_pk_fma_f32 v[38:39], v[54:55], s[30:31], v[36:37] op_sel:[0,0,1] op_sel_hi:[1,0,0]
	v_pk_fma_f32 v[80:81], v[54:55], s[30:31], v[36:37] op_sel:[0,0,1] op_sel_hi:[1,0,0] neg_lo:[0,0,1] neg_hi:[0,0,1]
	v_mov_b32_e32 v36, v38
	v_mov_b32_e32 v37, v81
	s_mov_b32 s18, 0xbe3c28d5
	s_mov_b32 s19, s30
	v_pk_add_f32 v[116:117], v[20:21], v[26:27] neg_lo:[0,1] neg_hi:[0,1]
	v_pk_add_f32 v[18:19], v[36:37], v[18:19]
	s_mov_b32 s31, s18
	v_pk_add_f32 v[74:75], v[26:27], v[20:21]
	v_pk_mul_f32 v[36:37], v[116:117], s[18:19] op_sel:[1,0] op_sel_hi:[0,0]
	v_mov_b32_e32 v85, v39
	v_pk_fma_f32 v[38:39], v[74:75], s[30:31], v[36:37] op_sel_hi:[1,0,1]
	v_pk_fma_f32 v[102:103], v[74:75], s[30:31], v[36:37] op_sel_hi:[1,0,1] neg_lo:[0,0,1] neg_hi:[0,0,1]
	s_mov_b32 s20, 0xbf763a35
	v_mov_b32_e32 v36, v38
	v_mov_b32_e32 v37, v103
	s_mov_b32 s21, 0xbe8c1d8e
	s_mov_b32 s36, 0x3f763a35
	v_pk_add_f32 v[16:17], v[36:37], v[16:17]
	v_pk_mul_f32 v[36:37], v[56:57], s[36:37] op_sel_hi:[1,0]
	s_mov_b32 s37, s21
	v_accvgpr_write_b32 a25, v39
	s_mov_b32 s46, s21
	v_pk_mul_f32 v[38:39], v[116:117], s[36:37] op_sel:[1,0] op_sel_hi:[0,0]
	v_pk_fma_f32 v[40:41], v[74:75], s[46:47], v[38:39] op_sel_hi:[1,0,1]
	v_pk_fma_f32 v[90:91], v[74:75], s[46:47], v[38:39] op_sel_hi:[1,0,1] neg_lo:[0,0,1] neg_hi:[0,0,1]
	s_mov_b32 s22, 0x3f06c442
	v_mov_b32_e32 v38, v40
	v_mov_b32_e32 v39, v91
	s_mov_b32 s23, 0xbf59a7d5
	v_pk_add_f32 v[130:131], v[22:23], v[24:25] neg_lo:[0,1] neg_hi:[0,1]
	v_pk_add_f32 v[18:19], v[38:39], v[18:19]
	s_mov_b32 s44, s23
	v_pk_add_f32 v[76:77], v[24:25], v[22:23]
	v_pk_mul_f32 v[38:39], v[130:131], s[22:23] op_sel:[1,0] op_sel_hi:[0,0]
	v_accvgpr_write_b32 a15, v41
	v_pk_fma_f32 v[40:41], v[76:77], s[44:45], v[38:39] op_sel_hi:[1,0,1]
	v_pk_fma_f32 v[114:115], v[76:77], s[44:45], v[38:39] op_sel_hi:[1,0,1] neg_lo:[0,0,1] neg_hi:[0,0,1]
	v_mov_b32_e32 v38, v40
	v_mov_b32_e32 v39, v115
	s_mov_b32 s24, 0x3f2c7751
	v_pk_add_f32 v[16:17], v[38:39], v[16:17]
	s_mov_b32 s50, s7
	v_pk_mul_f32 v[38:39], v[130:131], s[24:25] op_sel:[1,0] op_sel_hi:[0,0]
	v_mov_b32_e32 v91, v41
	v_pk_fma_f32 v[40:41], v[76:77], s[50:51], v[38:39] op_sel_hi:[1,0,1]
	v_pk_fma_f32 v[110:111], v[76:77], s[50:51], v[38:39] op_sel_hi:[1,0,1] neg_lo:[0,0,1] neg_hi:[0,0,1]
	v_mov_b32_e32 v38, v40
	v_mov_b32_e32 v39, v111
	v_pk_add_f32 v[142:143], v[8:9], v[14:15] neg_lo:[0,1] neg_hi:[0,1]
	v_pk_add_f32 v[18:19], v[38:39], v[18:19]
	v_pk_add_f32 v[78:79], v[14:15], v[8:9]
	v_pk_mul_f32 v[38:39], v[142:143], s[36:37] op_sel:[1,0] op_sel_hi:[0,0]
	v_accvgpr_write_b32 a27, v41
	v_pk_fma_f32 v[40:41], v[78:79], s[46:47], v[38:39] op_sel_hi:[1,0,1]
	v_pk_fma_f32 v[124:125], v[78:79], s[46:47], v[38:39] op_sel_hi:[1,0,1] neg_lo:[0,0,1] neg_hi:[0,0,1]
	s_mov_b32 s40, 0xbeb8f4ab
	v_mov_b32_e32 v38, v40
	v_mov_b32_e32 v39, v125
	s_mov_b32 s41, 0x3f6eb680
	v_pk_add_f32 v[16:17], v[38:39], v[16:17]
	s_mov_b32 s56, s41
	v_pk_mul_f32 v[38:39], v[142:143], s[40:41] op_sel:[1,0] op_sel_hi:[0,0]
	v_mov_b32_e32 v111, v41
	v_pk_fma_f32 v[40:41], v[78:79], s[56:57], v[38:39] op_sel_hi:[1,0,1]
	v_pk_fma_f32 v[120:121], v[78:79], s[56:57], v[38:39] op_sel_hi:[1,0,1] neg_lo:[0,0,1] neg_hi:[0,0,1]
	v_mov_b32_e32 v38, v40
	v_mov_b32_e32 v39, v121
	s_mov_b32 s26, 0x3f65296c
	s_mov_b32 s27, s15
	v_pk_add_f32 v[182:183], v[10:11], v[12:13] neg_lo:[0,1] neg_hi:[0,1]
	v_pk_add_f32 v[18:19], v[38:39], v[18:19]
	s_mov_b32 s52, s15
	v_pk_add_f32 v[86:87], v[12:13], v[10:11]
	v_pk_mul_f32 v[38:39], v[182:183], s[26:27] op_sel:[1,0] op_sel_hi:[0,0]
	v_accvgpr_write_b32 a29, v41
	v_pk_fma_f32 v[40:41], v[86:87], s[52:53], v[38:39] op_sel_hi:[1,0,1]
	v_pk_fma_f32 v[134:135], v[86:87], s[52:53], v[38:39] op_sel_hi:[1,0,1] neg_lo:[0,0,1] neg_hi:[0,0,1]
	v_mov_b32_e32 v38, v40
	v_mov_b32_e32 v39, v135
	v_pk_add_f32 v[16:17], v[38:39], v[16:17]
	s_mov_b32 s54, s1
	v_pk_mul_f32 v[38:39], v[182:183], s[0:1] op_sel:[1,0] op_sel_hi:[0,0]
	v_mov_b32_e32 v121, v41
	v_pk_fma_f32 v[40:41], v[86:87], s[54:55], v[38:39] op_sel_hi:[1,0,1]
	v_pk_fma_f32 v[128:129], v[86:87], s[54:55], v[38:39] op_sel_hi:[1,0,1] neg_lo:[0,0,1] neg_hi:[0,0,1]
	v_mov_b32_e32 v38, v40
	v_mov_b32_e32 v39, v129
	s_mov_b32 s28, 0x3eb8f4ab
	v_pk_add_f32 v[200:201], v[4:5], v[6:7] neg_lo:[0,1] neg_hi:[0,1]
	v_pk_add_f32 v[38:39], v[38:39], v[18:19]
	v_pk_add_f32 v[104:105], v[6:7], v[4:5]
	v_pk_mul_f32 v[18:19], v[200:201], s[28:29] op_sel:[1,0] op_sel_hi:[0,0]
	s_mov_b32 s34, 0xbf06c442
	v_pk_fma_f32 v[42:43], v[104:105], s[56:57], v[18:19] op_sel_hi:[1,0,1]
	v_pk_fma_f32 v[148:149], v[104:105], s[56:57], v[18:19] op_sel_hi:[1,0,1] neg_lo:[0,0,1] neg_hi:[0,0,1]
	v_accvgpr_write_b32 a31, v41
	v_pk_mul_f32 v[40:41], v[116:117], s[34:35] op_sel:[1,0] op_sel_hi:[0,0]
	s_mov_b32 s35, s23
	v_mov_b32_e32 v18, v42
	v_mov_b32_e32 v19, v149
	v_pk_add_f32 v[18:19], v[18:19], v[16:17]
	v_pk_mul_f32 v[16:17], v[200:201], s[34:35] op_sel:[1,0] op_sel_hi:[0,0]
	v_mov_b32_e32 v129, v43
	v_pk_fma_f32 v[42:43], v[104:105], s[44:45], v[16:17] op_sel_hi:[1,0,1]
	v_pk_fma_f32 v[138:139], v[104:105], s[44:45], v[16:17] op_sel_hi:[1,0,1] neg_lo:[0,0,1] neg_hi:[0,0,1]
	v_mov_b32_e32 v16, v42
	v_mov_b32_e32 v17, v139
	v_pk_mul_f32 v[206:207], v[50:51], s[38:39]
	v_pk_add_f32 v[16:17], v[16:17], v[38:39]
	v_pk_fma_f32 v[208:209], v[44:45], s[0:1], v[206:207]
	v_pk_fma_f32 v[38:39], v[44:45], s[0:1], v[206:207] neg_lo:[0,0,1] neg_hi:[0,0,1]
	v_pk_mul_f32 v[210:211], v[62:63], s[30:31]
	v_accvgpr_write_b32 a33, v43
	v_mov_b32_e32 v38, v208
	v_pk_fma_f32 v[212:213], v[46:47], s[18:19], v[210:211]
	v_pk_fma_f32 v[42:43], v[46:47], s[18:19], v[210:211] neg_lo:[0,0,1] neg_hi:[0,0,1]
	v_pk_add_f32 v[38:39], v[38:39], v[0:1]
	v_mov_b32_e32 v42, v212
	v_pk_fma_f32 v[218:219], v[54:55], s[46:47], v[36:37] op_sel:[0,0,1] op_sel_hi:[1,0,0]
	v_pk_fma_f32 v[140:141], v[54:55], s[46:47], v[36:37] op_sel:[0,0,1] op_sel_hi:[1,0,0] neg_lo:[0,0,1] neg_hi:[0,0,1]
	s_mov_b32 s38, s21
	s_mov_b32 s39, s20
	v_pk_add_f32 v[38:39], v[42:43], v[38:39]
	v_mov_b32_e32 v36, v218
	v_mov_b32_e32 v37, v141
	s_mov_b32 s58, s23
	s_mov_b32 s59, s22
	v_pk_mul_f32 v[228:229], v[50:51], s[38:39]
	v_pk_add_f32 v[36:37], v[36:37], v[38:39]
	v_pk_fma_f32 v[230:231], v[44:45], s[20:21], v[228:229]
	v_pk_fma_f32 v[38:39], v[44:45], s[20:21], v[228:229] neg_lo:[0,0,1] neg_hi:[0,0,1]
	v_pk_mul_f32 v[232:233], v[62:63], s[58:59]
	v_mov_b32_e32 v38, v230
	v_pk_fma_f32 v[234:235], v[46:47], s[22:23], v[232:233]
	v_pk_fma_f32 v[42:43], v[46:47], s[22:23], v[232:233] neg_lo:[0,0,1] neg_hi:[0,0,1]
	v_pk_add_f32 v[38:39], v[38:39], v[0:1]
	v_mov_b32_e32 v42, v234
	v_pk_add_f32 v[38:39], v[42:43], v[38:39]
	v_pk_mul_f32 v[42:43], v[56:57], s[24:25] op_sel_hi:[1,0]
	s_mov_b32 s38, 0x3f7ee86f
	v_pk_fma_f32 v[238:239], v[54:55], s[50:51], v[42:43] op_sel:[0,0,1] op_sel_hi:[1,0,0]
	v_pk_fma_f32 v[144:145], v[54:55], s[50:51], v[42:43] op_sel:[0,0,1] op_sel_hi:[1,0,0] neg_lo:[0,0,1] neg_hi:[0,0,1]
	v_mov_b32_e32 v42, v238
	v_mov_b32_e32 v43, v145
	v_pk_add_f32 v[38:39], v[42:43], v[38:39]
	v_pk_mul_f32 v[42:43], v[116:117], s[28:29] op_sel:[1,0] op_sel_hi:[0,0]
	v_pk_fma_f32 v[236:237], v[74:75], s[56:57], v[42:43] op_sel_hi:[1,0,1]
	v_pk_fma_f32 v[154:155], v[74:75], s[56:57], v[42:43] op_sel_hi:[1,0,1] neg_lo:[0,0,1] neg_hi:[0,0,1]
	v_mov_b32_e32 v42, v236
	v_mov_b32_e32 v43, v155
	v_pk_add_f32 v[36:37], v[42:43], v[36:37]
	v_pk_mul_f32 v[42:43], v[116:117], s[14:15] op_sel:[1,0] op_sel_hi:[0,0]
	v_pk_fma_f32 v[240:241], v[74:75], s[52:53], v[42:43] op_sel_hi:[1,0,1]
	v_pk_fma_f32 v[150:151], v[74:75], s[52:53], v[42:43] op_sel_hi:[1,0,1] neg_lo:[0,0,1] neg_hi:[0,0,1]
	;; [unrolled: 6-line block ×4, first 2 shown]
	v_mov_b32_e32 v42, v242
	v_mov_b32_e32 v43, v153
	v_pk_add_f32 v[38:39], v[42:43], v[38:39]
	v_pk_mul_f32 v[42:43], v[142:143], s[34:35] op_sel:[1,0] op_sel_hi:[0,0]
	v_accvgpr_write_b32 a35, v53
	v_pk_fma_f32 v[52:53], v[78:79], s[44:45], v[42:43] op_sel_hi:[1,0,1]
	v_pk_fma_f32 v[166:167], v[78:79], s[44:45], v[42:43] op_sel_hi:[1,0,1] neg_lo:[0,0,1] neg_hi:[0,0,1]
	v_mov_b32_e32 v42, v52
	v_mov_b32_e32 v43, v167
	v_pk_add_f32 v[36:37], v[42:43], v[36:37]
	v_pk_mul_f32 v[42:43], v[142:143], s[38:39] op_sel:[1,0] op_sel_hi:[0,0]
	v_accvgpr_write_b32 a39, v53
	v_pk_fma_f32 v[52:53], v[78:79], s[54:55], v[42:43] op_sel_hi:[1,0,1]
	v_pk_fma_f32 v[160:161], v[78:79], s[54:55], v[42:43] op_sel_hi:[1,0,1] neg_lo:[0,0,1] neg_hi:[0,0,1]
	v_mov_b32_e32 v42, v52
	v_mov_b32_e32 v43, v161
	s_mov_b32 s58, 0x3f4c4adb
	v_pk_add_f32 v[38:39], v[42:43], v[38:39]
	v_pk_mul_f32 v[42:43], v[182:183], s[58:59] op_sel:[1,0] op_sel_hi:[0,0]
	v_accvgpr_write_b32 a37, v53
	v_pk_fma_f32 v[52:53], v[86:87], s[42:43], v[42:43] op_sel_hi:[1,0,1]
	v_pk_fma_f32 v[178:179], v[86:87], s[42:43], v[42:43] op_sel_hi:[1,0,1] neg_lo:[0,0,1] neg_hi:[0,0,1]
	v_mov_b32_e32 v42, v52
	v_mov_b32_e32 v43, v179
	v_pk_add_f32 v[36:37], v[42:43], v[36:37]
	v_pk_mul_f32 v[42:43], v[182:183], s[40:41] op_sel:[1,0] op_sel_hi:[0,0]
	v_mov_b32_e32 v161, v53
	v_pk_fma_f32 v[52:53], v[86:87], s[56:57], v[42:43] op_sel_hi:[1,0,1]
	v_pk_fma_f32 v[170:171], v[86:87], s[56:57], v[42:43] op_sel_hi:[1,0,1] neg_lo:[0,0,1] neg_hi:[0,0,1]
	v_mov_b32_e32 v42, v52
	v_mov_b32_e32 v43, v171
	v_pk_add_f32 v[42:43], v[42:43], v[38:39]
	v_pk_mul_f32 v[38:39], v[200:201], s[24:25] op_sel:[1,0] op_sel_hi:[0,0]
	v_pk_fma_f32 v[184:185], v[104:105], s[50:51], v[38:39] op_sel_hi:[1,0,1]
	v_pk_fma_f32 v[186:187], v[104:105], s[50:51], v[38:39] op_sel_hi:[1,0,1] neg_lo:[0,0,1] neg_hi:[0,0,1]
	v_mov_b32_e32 v38, v184
	v_mov_b32_e32 v39, v187
	v_pk_add_f32 v[38:39], v[38:39], v[36:37]
	v_pk_mul_f32 v[36:37], v[200:201], s[16:17] op_sel:[1,0] op_sel_hi:[0,0]
	v_accvgpr_write_b32 a41, v53
	v_pk_fma_f32 v[52:53], v[104:105], s[42:43], v[36:37] op_sel_hi:[1,0,1]
	v_pk_fma_f32 v[174:175], v[104:105], s[42:43], v[36:37] op_sel_hi:[1,0,1] neg_lo:[0,0,1] neg_hi:[0,0,1]
	v_mov_b32_e32 v36, v52
	v_mov_b32_e32 v37, v175
	s_mov_b32 s60, s21
	s_mov_b32 s61, s36
	v_pk_mul_f32 v[66:67], v[50:51], s[48:49]
	v_pk_add_f32 v[36:37], v[36:37], v[42:43]
	v_pk_fma_f32 v[244:245], v[44:45], s[16:17], v[66:67]
	v_pk_fma_f32 v[42:43], v[44:45], s[16:17], v[66:67] neg_lo:[0,0,1] neg_hi:[0,0,1]
	v_pk_mul_f32 v[246:247], v[62:63], s[60:61]
	v_accvgpr_write_b32 a43, v53
	v_mov_b32_e32 v42, v244
	v_pk_fma_f32 v[248:249], v[46:47], s[36:37], v[246:247]
	v_pk_fma_f32 v[52:53], v[46:47], s[36:37], v[246:247] neg_lo:[0,0,1] neg_hi:[0,0,1]
	v_pk_add_f32 v[42:43], v[42:43], v[0:1]
	v_mov_b32_e32 v52, v248
	v_pk_add_f32 v[42:43], v[52:53], v[42:43]
	v_pk_mul_f32 v[52:53], v[56:57], s[40:41] op_sel_hi:[1,0]
	v_pk_fma_f32 v[252:253], v[74:75], s[44:45], v[40:41] op_sel_hi:[1,0,1]
	v_pk_fma_f32 v[250:251], v[54:55], s[56:57], v[52:53] op_sel:[0,0,1] op_sel_hi:[1,0,0]
	v_pk_fma_f32 v[180:181], v[54:55], s[56:57], v[52:53] op_sel:[0,0,1] op_sel_hi:[1,0,0] neg_lo:[0,0,1] neg_hi:[0,0,1]
	v_mov_b32_e32 v52, v250
	v_mov_b32_e32 v53, v181
	v_pk_fma_f32 v[188:189], v[74:75], s[44:45], v[40:41] op_sel_hi:[1,0,1] neg_lo:[0,0,1] neg_hi:[0,0,1]
	v_pk_add_f32 v[42:43], v[52:53], v[42:43]
	v_mov_b32_e32 v40, v252
	v_mov_b32_e32 v41, v189
	v_pk_add_f32 v[40:41], v[40:41], v[42:43]
	v_pk_mul_f32 v[42:43], v[130:131], s[38:39] op_sel:[1,0] op_sel_hi:[0,0]
	v_pk_fma_f32 v[254:255], v[76:77], s[54:55], v[42:43] op_sel_hi:[1,0,1]
	v_pk_fma_f32 v[190:191], v[76:77], s[54:55], v[42:43] op_sel_hi:[1,0,1] neg_lo:[0,0,1] neg_hi:[0,0,1]
	s_mov_b32 s48, s23
	s_mov_b32 s49, s34
	v_mov_b32_e32 v42, v254
	v_mov_b32_e32 v43, v191
	s_mov_b32 s60, s15
	s_mov_b32 s61, s26
	v_pk_mul_f32 v[94:95], v[50:51], s[48:49]
	v_pk_add_f32 v[40:41], v[42:43], v[40:41]
	v_pk_fma_f32 v[98:99], v[44:45], s[34:35], v[94:95]
	v_pk_fma_f32 v[42:43], v[44:45], s[34:35], v[94:95] neg_lo:[0,0,1] neg_hi:[0,0,1]
	v_pk_mul_f32 v[100:101], v[62:63], s[60:61]
	v_mov_b32_e32 v42, v98
	v_pk_fma_f32 v[108:109], v[46:47], s[26:27], v[100:101]
	v_pk_fma_f32 v[52:53], v[46:47], s[26:27], v[100:101] neg_lo:[0,0,1] neg_hi:[0,0,1]
	v_pk_add_f32 v[42:43], v[42:43], v[0:1]
	v_mov_b32_e32 v52, v108
	v_pk_add_f32 v[42:43], v[52:53], v[42:43]
	v_pk_mul_f32 v[52:53], v[56:57], s[0:1] op_sel_hi:[1,0]
	s_mov_b32 s48, s41
	v_pk_fma_f32 v[118:119], v[54:55], s[54:55], v[52:53] op_sel:[0,0,1] op_sel_hi:[1,0,0]
	v_pk_fma_f32 v[192:193], v[54:55], s[54:55], v[52:53] op_sel:[0,0,1] op_sel_hi:[1,0,0] neg_lo:[0,0,1] neg_hi:[0,0,1]
	v_mov_b32_e32 v52, v118
	v_mov_b32_e32 v53, v193
	v_pk_add_f32 v[42:43], v[52:53], v[42:43]
	v_pk_mul_f32 v[52:53], v[116:117], s[58:59] op_sel:[1,0] op_sel_hi:[0,0]
	v_pk_fma_f32 v[146:147], v[74:75], s[42:43], v[52:53] op_sel_hi:[1,0,1]
	v_pk_fma_f32 v[194:195], v[74:75], s[42:43], v[52:53] op_sel_hi:[1,0,1] neg_lo:[0,0,1] neg_hi:[0,0,1]
	v_mov_b32_e32 v52, v146
	v_mov_b32_e32 v53, v195
	v_pk_add_f32 v[42:43], v[52:53], v[42:43]
	v_pk_mul_f32 v[52:53], v[130:131], s[40:41] op_sel:[1,0] op_sel_hi:[0,0]
	v_pk_fma_f32 v[156:157], v[76:77], s[56:57], v[52:53] op_sel_hi:[1,0,1]
	v_pk_fma_f32 v[196:197], v[76:77], s[56:57], v[52:53] op_sel_hi:[1,0,1] neg_lo:[0,0,1] neg_hi:[0,0,1]
	;; [unrolled: 6-line block ×8, first 2 shown]
	v_mov_b32_e32 v40, v220
	v_mov_b32_e32 v41, v223
	s_mov_b32 s49, s40
	v_pk_add_f32 v[40:41], v[40:41], v[52:53]
	v_pk_mul_f32 v[52:53], v[58:59], s[6:7] op_sel:[1,0] op_sel_hi:[0,0]
	v_pk_mul_f32 v[158:159], v[50:51], s[48:49]
	v_pk_fma_f32 v[70:71], v[72:73], s[50:51], v[52:53] op_sel_hi:[1,0,1]
	v_pk_fma_f32 v[60:61], v[72:73], s[50:51], v[52:53] op_sel_hi:[1,0,1] neg_lo:[0,0,1] neg_hi:[0,0,1]
	v_pk_fma_f32 v[92:93], v[44:45], s[40:41], v[158:159]
	v_pk_fma_f32 v[52:53], v[44:45], s[40:41], v[158:159] neg_lo:[0,0,1] neg_hi:[0,0,1]
	v_mov_b32_e32 v65, v59
	v_mov_b32_e32 v52, v92
	v_pk_add_f32 v[52:53], v[52:53], v[0:1]
	v_mov_b32_e32 v58, v70
	v_mov_b32_e32 v59, v61
	v_pk_add_f32 v[52:53], v[58:59], v[52:53]
	v_pk_mul_f32 v[58:59], v[56:57], s[14:15] op_sel_hi:[1,0]
	v_pk_mul_f32 v[96:97], v[182:183], s[34:35] op_sel:[1,0] op_sel_hi:[0,0]
	v_pk_fma_f32 v[88:89], v[54:55], s[52:53], v[58:59] op_sel:[0,0,1] op_sel_hi:[1,0,0]
	v_pk_fma_f32 v[82:83], v[54:55], s[52:53], v[58:59] op_sel:[0,0,1] op_sel_hi:[1,0,0] neg_lo:[0,0,1] neg_hi:[0,0,1]
	v_mov_b32_e32 v58, v88
	v_mov_b32_e32 v59, v83
	v_pk_add_f32 v[52:53], v[58:59], v[52:53]
	v_pk_mul_f32 v[58:59], v[116:117], s[0:1] op_sel:[1,0] op_sel_hi:[0,0]
	v_pk_fma_f32 v[112:113], v[74:75], s[54:55], v[58:59] op_sel_hi:[1,0,1]
	v_pk_fma_f32 v[106:107], v[74:75], s[54:55], v[58:59] op_sel_hi:[1,0,1] neg_lo:[0,0,1] neg_hi:[0,0,1]
	v_mov_b32_e32 v58, v112
	v_mov_b32_e32 v59, v107
	v_pk_add_f32 v[52:53], v[58:59], v[52:53]
	v_pk_mul_f32 v[58:59], v[130:131], s[20:21] op_sel:[1,0] op_sel_hi:[0,0]
	v_pk_fma_f32 v[68:69], v[76:77], s[46:47], v[58:59] op_sel_hi:[1,0,1]
	v_pk_fma_f32 v[58:59], v[76:77], s[46:47], v[58:59] op_sel_hi:[1,0,1] neg_lo:[0,0,1] neg_hi:[0,0,1]
	;; [unrolled: 6-line block ×3, first 2 shown]
	v_mov_b32_e32 v72, v126
	v_mov_b32_e32 v73, v123
	v_pk_add_f32 v[52:53], v[72:73], v[52:53]
	v_pk_fma_f32 v[72:73], v[86:87], s[44:45], v[96:97] op_sel_hi:[1,0,1]
	v_pk_fma_f32 v[136:137], v[86:87], s[44:45], v[96:97] op_sel_hi:[1,0,1] neg_lo:[0,0,1] neg_hi:[0,0,1]
	v_mov_b32_e32 v96, v72
	v_mov_b32_e32 v97, v137
	v_pk_add_f32 v[172:173], v[96:97], v[52:53]
	v_pk_mul_f32 v[96:97], v[200:201], s[18:19] op_sel:[1,0] op_sel_hi:[0,0]
	v_pk_fma_f32 v[176:177], v[104:105], s[30:31], v[96:97] op_sel_hi:[1,0,1]
	v_pk_fma_f32 v[96:97], v[104:105], s[30:31], v[96:97] op_sel_hi:[1,0,1] neg_lo:[0,0,1] neg_hi:[0,0,1]
	v_mov_b32_e32 v52, v176
	v_mov_b32_e32 v53, v97
	v_accvgpr_read_b32 v176, a1
	v_pk_add_f32 v[172:173], v[52:53], v[172:173]
	v_mul_lo_u16_e32 v72, 17, v176
	s_barrier
	s_and_saveexec_b64 s[42:43], s[2:3]
	s_cbranch_execz .LBB0_7
; %bb.6:
	v_pk_add_f32 v[2:3], v[2:3], v[0:1]
	v_mov_b32_e32 v195, v147
	v_pk_add_f32 v[2:3], v[32:33], v[2:3]
	v_accvgpr_read_b32 v147, a17
	v_pk_add_f32 v[52:53], v[34:35], v[2:3]
	v_mov_b32_e32 v34, v143
	v_mov_b32_e32 v35, v142
	v_mov_b32_e32 v197, v157
	v_pk_mul_f32 v[142:143], v[44:45], s[14:15]
	v_accvgpr_read_b32 v146, a16
	v_accvgpr_read_b32 v157, a21
	v_mov_b32_e32 v199, v165
	v_pk_add_f32 v[142:143], v[146:147], v[142:143] neg_lo:[0,1] neg_hi:[0,1]
	v_pk_mul_f32 v[146:147], v[46:47], s[16:17]
	v_accvgpr_read_b32 v156, a20
	v_accvgpr_read_b32 v165, a5
	v_mov_b32_e32 v205, v169
	v_pk_add_f32 v[146:147], v[156:157], v[146:147] neg_lo:[0,1] neg_hi:[0,1]
	v_pk_mul_f32 v[156:157], v[44:45], s[6:7]
	v_accvgpr_read_b32 v164, a4
	v_accvgpr_read_b32 v169, a9
	v_pk_add_f32 v[20:21], v[20:21], v[52:53]
	v_pk_add_f32 v[156:157], v[164:165], v[156:157] neg_lo:[0,1] neg_hi:[0,1]
	v_pk_mul_f32 v[164:165], v[46:47], s[0:1]
	v_accvgpr_read_b32 v168, a8
	v_pk_add_f32 v[20:21], v[22:23], v[20:21]
	v_pk_add_f32 v[164:165], v[168:169], v[164:165] neg_lo:[0,1] neg_hi:[0,1]
	v_pk_mul_f32 v[168:169], v[44:45], s[40:41]
	v_pk_add_f32 v[8:9], v[8:9], v[20:21]
	v_pk_add_f32 v[158:159], v[158:159], v[168:169] neg_lo:[0,1] neg_hi:[0,1]
	v_pk_add_f32 v[8:9], v[10:11], v[8:9]
	v_mov_b32_e32 v159, v93
	v_pk_add_f32 v[4:5], v[4:5], v[8:9]
	v_mov_b32_e32 v61, v71
	v_pk_add_f32 v[4:5], v[6:7], v[4:5]
	v_pk_add_f32 v[6:7], v[158:159], v[0:1]
	;; [unrolled: 1-line block ×4, first 2 shown]
	v_mov_b32_e32 v83, v89
	v_pk_add_f32 v[4:5], v[14:15], v[4:5]
	v_pk_add_f32 v[6:7], v[82:83], v[6:7]
	v_mov_b32_e32 v107, v113
	v_pk_add_f32 v[4:5], v[24:25], v[4:5]
	v_pk_add_f32 v[6:7], v[106:107], v[6:7]
	;; [unrolled: 3-line block ×5, first 2 shown]
	v_mov_b32_e32 v97, v177
	v_accvgpr_read_b32 v143, a19
	v_accvgpr_read_b32 v157, a7
	v_lshlrev_b32_e32 v52, 3, v72
	v_pk_add_f32 v[4:5], v[48:49], v[4:5]
	v_pk_add_f32 v[6:7], v[96:97], v[6:7]
	v_accvgpr_write_b32 a2, v172
	v_accvgpr_read_b32 v147, a23
	v_accvgpr_read_b32 v165, a11
	ds_write2_b64 v52, v[4:5], v[6:7] offset1:1
	v_pk_add_f32 v[4:5], v[156:157], v[0:1]
	v_pk_add_f32 v[6:7], v[142:143], v[0:1]
	v_accvgpr_write_b32 a3, v173
	v_mov_b32_e32 v172, v117
	v_mov_b32_e32 v173, v116
	v_mov_b32_e32 v116, v131
	v_mov_b32_e32 v117, v130
	v_pk_mul_f32 v[130:131], v[44:45], s[34:35]
	v_mov_b32_e32 v81, v85
	v_pk_add_f32 v[4:5], v[164:165], v[4:5]
	v_accvgpr_read_b32 v85, a13
	v_pk_add_f32 v[6:7], v[146:147], v[6:7]
	v_pk_add_f32 v[94:95], v[94:95], v[130:131] neg_lo:[0,1] neg_hi:[0,1]
	v_pk_add_f32 v[4:5], v[84:85], v[4:5]
	v_accvgpr_read_b32 v103, a25
	v_mov_b32_e32 v115, v91
	v_pk_add_f32 v[6:7], v[80:81], v[6:7]
	v_accvgpr_read_b32 v91, a15
	v_mov_b32_e32 v95, v99
	v_pk_mul_f32 v[98:99], v[46:47], s[26:27]
	v_pk_add_f32 v[4:5], v[102:103], v[4:5]
	v_mov_b32_e32 v125, v111
	v_pk_add_f32 v[6:7], v[90:91], v[6:7]
	v_accvgpr_read_b32 v111, a27
	v_pk_add_f32 v[98:99], v[100:101], v[98:99] neg_lo:[0,1] neg_hi:[0,1]
	v_pk_add_f32 v[4:5], v[114:115], v[4:5]
	v_mov_b32_e32 v135, v121
	v_pk_add_f32 v[6:7], v[110:111], v[6:7]
	v_accvgpr_read_b32 v121, a29
	v_mov_b32_e32 v99, v109
	v_pk_mul_f32 v[108:109], v[44:45], s[20:21]
	v_pk_mul_f32 v[130:131], v[44:45], s[0:1]
	v_pk_add_f32 v[4:5], v[124:125], v[4:5]
	v_mov_b32_e32 v149, v129
	v_pk_add_f32 v[6:7], v[120:121], v[6:7]
	v_accvgpr_read_b32 v129, a31
	v_mov_b32_e32 v193, v119
	v_mov_b32_e32 v203, v133
	v_pk_add_f32 v[108:109], v[228:229], v[108:109] neg_lo:[0,1] neg_hi:[0,1]
	v_pk_mul_f32 v[118:119], v[46:47], s[22:23]
	v_pk_add_f32 v[130:131], v[206:207], v[130:131] neg_lo:[0,1] neg_hi:[0,1]
	v_pk_mul_f32 v[132:133], v[46:47], s[18:19]
	v_pk_add_f32 v[4:5], v[134:135], v[4:5]
	v_pk_add_f32 v[6:7], v[128:129], v[6:7]
	v_accvgpr_read_b32 v139, a33
	v_mov_b32_e32 v109, v231
	v_pk_add_f32 v[118:119], v[232:233], v[118:119] neg_lo:[0,1] neg_hi:[0,1]
	v_mov_b32_e32 v131, v209
	v_pk_add_f32 v[132:133], v[210:211], v[132:133] neg_lo:[0,1] neg_hi:[0,1]
	v_pk_add_f32 v[4:5], v[148:149], v[4:5]
	v_pk_add_f32 v[6:7], v[138:139], v[6:7]
	v_mov_b32_e32 v119, v235
	v_mov_b32_e32 v133, v213
	ds_write2_b64 v52, v[4:5], v[6:7] offset0:2 offset1:3
	v_pk_add_f32 v[4:5], v[130:131], v[0:1]
	v_pk_add_f32 v[6:7], v[108:109], v[0:1]
	v_mov_b32_e32 v145, v239
	v_mov_b32_e32 v141, v219
	v_pk_add_f32 v[4:5], v[132:133], v[4:5]
	v_pk_add_f32 v[6:7], v[118:119], v[6:7]
	v_mov_b32_e32 v151, v241
	v_mov_b32_e32 v155, v237
	v_pk_add_f32 v[4:5], v[140:141], v[4:5]
	v_pk_add_f32 v[6:7], v[144:145], v[6:7]
	v_mov_b32_e32 v153, v243
	v_pk_add_f32 v[4:5], v[154:155], v[4:5]
	v_accvgpr_read_b32 v163, a35
	v_pk_add_f32 v[6:7], v[150:151], v[6:7]
	v_pk_add_f32 v[4:5], v[162:163], v[4:5]
	v_accvgpr_read_b32 v167, a39
	v_mov_b32_e32 v179, v161
	v_pk_add_f32 v[6:7], v[152:153], v[6:7]
	v_accvgpr_read_b32 v161, a37
	v_pk_mul_f32 v[100:101], v[44:45], s[16:17]
	v_pk_add_f32 v[4:5], v[166:167], v[4:5]
	v_pk_add_f32 v[6:7], v[160:161], v[6:7]
	v_accvgpr_read_b32 v171, a41
	v_pk_add_f32 v[66:67], v[66:67], v[100:101] neg_lo:[0,1] neg_hi:[0,1]
	v_pk_mul_f32 v[100:101], v[46:47], s[36:37]
	v_pk_add_f32 v[4:5], v[178:179], v[4:5]
	v_mov_b32_e32 v187, v185
	v_pk_add_f32 v[6:7], v[170:171], v[6:7]
	v_accvgpr_read_b32 v175, a43
	v_mov_b32_e32 v67, v245
	v_pk_add_f32 v[100:101], v[246:247], v[100:101] neg_lo:[0,1] neg_hi:[0,1]
	v_pk_add_f32 v[4:5], v[186:187], v[4:5]
	v_pk_add_f32 v[6:7], v[174:175], v[6:7]
	v_mov_b32_e32 v101, v249
	ds_write2_b64 v52, v[4:5], v[6:7] offset0:4 offset1:5
	v_pk_add_f32 v[4:5], v[66:67], v[0:1]
	v_pk_add_f32 v[6:7], v[94:95], v[0:1]
	v_mov_b32_e32 v181, v251
	v_pk_add_f32 v[4:5], v[100:101], v[4:5]
	v_pk_add_f32 v[6:7], v[98:99], v[6:7]
	v_mov_b32_e32 v189, v253
	;; [unrolled: 3-line block ×3, first 2 shown]
	v_pk_add_f32 v[4:5], v[188:189], v[4:5]
	v_pk_add_f32 v[6:7], v[194:195], v[6:7]
	;; [unrolled: 1-line block ×5, first 2 shown]
	v_mov_b32_e32 v217, v215
	v_pk_add_f32 v[6:7], v[198:199], v[6:7]
	v_pk_add_f32 v[4:5], v[216:217], v[4:5]
	v_mov_b32_e32 v227, v225
	v_pk_add_f32 v[6:7], v[204:205], v[6:7]
	v_mov_b32_e32 v223, v221
	v_pk_mul_f32 v[50:51], v[50:51], s[30:31]
	s_mov_b32 s30, s41
	s_mov_b32 s31, s28
	v_pk_add_f32 v[4:5], v[226:227], v[4:5]
	v_pk_add_f32 v[6:7], v[222:223], v[6:7]
	v_pk_mul_f32 v[62:63], v[62:63], s[30:31]
	v_mov_b32_e32 v68, v65
	s_mov_b32 s29, s41
	ds_write2_b64 v52, v[4:5], v[6:7] offset0:6 offset1:7
	v_pk_fma_f32 v[4:5], v[44:45], s[18:19], v[50:51] neg_lo:[1,0,0] neg_hi:[1,0,0]
	v_pk_fma_f32 v[6:7], v[44:45], s[18:19], v[50:51]
	v_pk_fma_f32 v[8:9], v[68:69], s[28:29], v[62:63] neg_lo:[1,0,0] neg_hi:[1,0,0]
	v_mov_b32_e32 v5, v7
	v_pk_fma_f32 v[10:11], v[46:47], s[28:29], v[62:63]
	v_pk_add_f32 v[4:5], v[4:5], v[0:1]
	v_mov_b32_e32 v9, v11
	v_pk_add_f32 v[4:5], v[8:9], v[4:5]
	s_mov_b32 s0, s23
	v_pk_mul_f32 v[8:9], v[56:57], s[34:35] op_sel_hi:[1,0]
	v_pk_fma_f32 v[44:45], v[44:45], s[18:19], v[50:51] neg_lo:[0,0,1] neg_hi:[0,0,1]
	v_pk_fma_f32 v[12:13], v[54:55], s[0:1], v[8:9] op_sel:[0,0,1] op_sel_hi:[1,0,0] neg_lo:[0,0,1] neg_hi:[0,0,1]
	v_pk_fma_f32 v[8:9], v[54:55], s[0:1], v[8:9] op_sel:[0,0,1] op_sel_hi:[1,0,0]
	v_mov_b32_e32 v14, v12
	v_mov_b32_e32 v15, v9
	v_pk_add_f32 v[4:5], v[14:15], v[4:5]
	s_mov_b32 s0, s7
	v_pk_mul_f32 v[14:15], v[172:173], s[24:25] op_sel_hi:[1,0]
	v_mov_b32_e32 v7, v45
	v_pk_fma_f32 v[20:21], v[74:75], s[0:1], v[14:15] op_sel_hi:[1,0,1] neg_lo:[0,0,1] neg_hi:[0,0,1]
	v_pk_fma_f32 v[14:15], v[74:75], s[0:1], v[14:15] op_sel_hi:[1,0,1]
	v_mov_b32_e32 v22, v20
	v_mov_b32_e32 v23, v15
	v_pk_add_f32 v[4:5], v[22:23], v[4:5]
	s_mov_b32 s0, s17
	v_pk_mul_f32 v[22:23], v[116:117], s[16:17] op_sel_hi:[1,0]
	v_pk_add_f32 v[0:1], v[6:7], v[0:1]
	v_pk_fma_f32 v[24:25], v[76:77], s[0:1], v[22:23] op_sel_hi:[1,0,1] neg_lo:[0,0,1] neg_hi:[0,0,1]
	v_pk_fma_f32 v[22:23], v[76:77], s[0:1], v[22:23] op_sel_hi:[1,0,1]
	v_mov_b32_e32 v26, v24
	v_mov_b32_e32 v27, v23
	v_pk_add_f32 v[4:5], v[26:27], v[4:5]
	s_mov_b32 s0, s15
	v_pk_mul_f32 v[26:27], v[34:35], s[26:27] op_sel_hi:[1,0]
	v_pk_fma_f32 v[6:7], v[46:47], s[28:29], v[62:63] neg_lo:[0,0,1] neg_hi:[0,0,1]
	v_pk_fma_f32 v[28:29], v[78:79], s[0:1], v[26:27] op_sel_hi:[1,0,1] neg_lo:[0,0,1] neg_hi:[0,0,1]
	v_pk_fma_f32 v[26:27], v[78:79], s[0:1], v[26:27] op_sel_hi:[1,0,1]
	v_mov_b32_e32 v11, v7
	v_mov_b32_e32 v32, v183
	;; [unrolled: 1-line block ×5, first 2 shown]
	v_pk_add_f32 v[0:1], v[10:11], v[0:1]
	v_mov_b32_e32 v9, v13
	v_pk_add_f32 v[4:5], v[30:31], v[4:5]
	s_mov_b32 s0, s21
	v_pk_mul_f32 v[30:31], v[32:33], s[20:21] op_sel_hi:[1,0]
	v_pk_add_f32 v[0:1], v[8:9], v[0:1]
	v_mov_b32_e32 v15, v21
	v_mov_b32_e32 v2, v201
	;; [unrolled: 1-line block ×3, first 2 shown]
	v_pk_fma_f32 v[32:33], v[86:87], s[0:1], v[30:31] op_sel_hi:[1,0,1] neg_lo:[0,0,1] neg_hi:[0,0,1]
	v_pk_fma_f32 v[30:31], v[86:87], s[0:1], v[30:31] op_sel_hi:[1,0,1]
	v_pk_add_f32 v[0:1], v[14:15], v[0:1]
	v_mov_b32_e32 v23, v25
	v_mov_b32_e32 v34, v32
	;; [unrolled: 1-line block ×3, first 2 shown]
	s_mov_b32 s0, s1
	v_pk_mul_f32 v[2:3], v[2:3], s[38:39] op_sel_hi:[1,0]
	v_pk_add_f32 v[0:1], v[22:23], v[0:1]
	v_mov_b32_e32 v27, v29
	v_pk_add_f32 v[4:5], v[34:35], v[4:5]
	v_pk_fma_f32 v[34:35], v[104:105], s[0:1], v[2:3] op_sel_hi:[1,0,1] neg_lo:[0,0,1] neg_hi:[0,0,1]
	v_pk_fma_f32 v[2:3], v[104:105], s[0:1], v[2:3] op_sel_hi:[1,0,1]
	v_pk_add_f32 v[0:1], v[26:27], v[0:1]
	v_mov_b32_e32 v31, v33
	v_accvgpr_read_b32 v173, a3
	v_mov_b32_e32 v48, v34
	v_mov_b32_e32 v49, v3
	v_pk_add_f32 v[0:1], v[30:31], v[0:1]
	v_mov_b32_e32 v3, v35
	v_accvgpr_read_b32 v172, a2
	v_pk_add_f32 v[4:5], v[48:49], v[4:5]
	v_pk_add_f32 v[0:1], v[2:3], v[0:1]
	ds_write2_b64 v52, v[4:5], v[0:1] offset0:8 offset1:9
	ds_write2_b64 v52, v[40:41], v[42:43] offset0:10 offset1:11
	;; [unrolled: 1-line block ×4, first 2 shown]
	ds_write_b64 v52, a[2:3] offset:128
.LBB0_7:
	s_or_b64 exec, exec, s[42:43]
	s_movk_i32 s0, 0xf1
	v_mul_lo_u16_sdwa v0, v176, s0 dst_sel:DWORD dst_unused:UNUSED_PAD src0_sel:BYTE_0 src1_sel:DWORD
	v_lshrrev_b16_e32 v34, 12, v0
	v_mul_lo_u16_e32 v0, 17, v34
	v_sub_u16_e32 v0, v176, v0
	v_and_b32_e32 v35, 0xff, v0
	s_movk_i32 s1, 0x48
	v_mov_b64_e32 v[20:21], s[10:11]
	v_mad_u64_u32 v[22:23], s[10:11], v35, s1, v[20:21]
	s_load_dwordx4 s[4:7], s[4:5], 0x0
	s_waitcnt lgkmcnt(0)
	s_barrier
	global_load_dwordx4 v[12:15], v[22:23], off
	global_load_dwordx4 v[8:11], v[22:23], off offset:16
	global_load_dwordx4 v[4:7], v[22:23], off offset:32
	;; [unrolled: 1-line block ×3, first 2 shown]
	global_load_dwordx2 v[68:69], v[22:23], off offset:64
	v_add_u32_e32 v67, 0x800, v64
	ds_read2_b64 v[22:25], v64 offset1:170
	v_add_u32_e32 v65, 0x1400, v64
	v_add_u32_e32 v73, 0x1e00, v64
	v_add_u32_e32 v66, 0x2800, v64
	ds_read2_b64 v[26:29], v67 offset0:84 offset1:254
	ds_read2_b64 v[30:33], v65 offset0:40 offset1:210
	;; [unrolled: 1-line block ×4, first 2 shown]
	v_mul_u32_u24_e32 v34, 0xaa, v34
	v_add_lshl_u32 v135, v34, v35, 3
	s_mov_b32 s14, 0x3f737871
	s_mov_b32 s10, 0x3f167918
	;; [unrolled: 1-line block ×4, first 2 shown]
	s_waitcnt lgkmcnt(0)
	s_barrier
	s_mov_b32 s18, 0xbf737871
	s_mov_b32 s19, s14
	;; [unrolled: 1-line block ×4, first 2 shown]
	s_waitcnt vmcnt(4)
	v_pk_mul_f32 v[34:35], v[24:25], v[12:13] op_sel:[0,1]
	v_mov_b32_e32 v52, v15
	s_waitcnt vmcnt(3)
	v_pk_mul_f32 v[54:55], v[28:29], v[8:9] op_sel:[0,1]
	v_mov_b32_e32 v56, v11
	;; [unrolled: 3-line block ×4, first 2 shown]
	s_waitcnt vmcnt(0)
	v_pk_mul_f32 v[74:75], v[50:51], v[68:69] op_sel:[0,1]
	v_pk_fma_f32 v[76:77], v[24:25], v[12:13], v[34:35] op_sel:[0,0,1] op_sel_hi:[1,1,0] neg_lo:[0,0,1] neg_hi:[0,0,1]
	v_pk_fma_f32 v[24:25], v[24:25], v[12:13], v[34:35] op_sel:[0,0,1] op_sel_hi:[1,0,0]
	v_pk_mul_f32 v[34:35], v[26:27], v[52:53] op_sel_hi:[1,0]
	v_pk_fma_f32 v[52:53], v[28:29], v[8:9], v[54:55] op_sel:[0,0,1] op_sel_hi:[1,1,0] neg_lo:[0,0,1] neg_hi:[0,0,1]
	v_pk_fma_f32 v[28:29], v[28:29], v[8:9], v[54:55] op_sel:[0,0,1] op_sel_hi:[1,0,0]
	v_pk_mul_f32 v[54:55], v[30:31], v[56:57] op_sel_hi:[1,0]
	;; [unrolled: 3-line block ×4, first 2 shown]
	v_pk_fma_f32 v[70:71], v[50:51], v[68:69], v[74:75] op_sel:[0,0,1] op_sel_hi:[1,1,0] neg_lo:[0,0,1] neg_hi:[0,0,1]
	v_pk_fma_f32 v[50:51], v[50:51], v[68:69], v[74:75] op_sel:[0,0,1] op_sel_hi:[1,0,0]
	v_mov_b32_e32 v53, v29
	v_mov_b32_e32 v57, v33
	;; [unrolled: 1-line block ×5, first 2 shown]
	v_pk_add_f32 v[74:75], v[56:57], v[60:61]
	v_pk_add_f32 v[78:79], v[52:53], v[70:71] neg_lo:[0,1] neg_hi:[0,1]
	v_pk_fma_f32 v[24:25], v[26:27], v[14:15], v[34:35] op_sel:[0,0,1] op_sel_hi:[1,1,0] neg_lo:[0,0,1] neg_hi:[0,0,1]
	v_pk_fma_f32 v[26:27], v[26:27], v[14:15], v[34:35] op_sel:[0,0,1] op_sel_hi:[1,0,0]
	v_pk_fma_f32 v[28:29], v[30:31], v[10:11], v[54:55] op_sel:[0,0,1] op_sel_hi:[1,1,0] neg_lo:[0,0,1] neg_hi:[0,0,1]
	v_pk_fma_f32 v[30:31], v[30:31], v[10:11], v[54:55] op_sel:[0,0,1] op_sel_hi:[1,0,0]
	;; [unrolled: 2-line block ×4, first 2 shown]
	v_pk_fma_f32 v[74:75], v[74:75], 0.5, v[76:77] op_sel_hi:[1,0,1] neg_lo:[1,0,0] neg_hi:[1,0,0]
	v_pk_mul_f32 v[80:81], v[78:79], s[14:15] op_sel_hi:[1,0]
	v_pk_add_f32 v[82:83], v[56:57], v[60:61] neg_lo:[0,1] neg_hi:[0,1]
	v_pk_add_f32 v[86:87], v[52:53], v[56:57] neg_lo:[0,1] neg_hi:[0,1]
	;; [unrolled: 1-line block ×3, first 2 shown]
	v_mov_b32_e32 v25, v27
	v_mov_b32_e32 v29, v31
	;; [unrolled: 1-line block ×4, first 2 shown]
	v_pk_mul_f32 v[84:85], v[82:83], s[10:11] op_sel_hi:[1,0]
	v_pk_add_f32 v[86:87], v[86:87], v[88:89]
	v_pk_add_f32 v[88:89], v[74:75], v[80:81] op_sel:[0,1] op_sel_hi:[1,0]
	v_pk_add_f32 v[74:75], v[74:75], v[80:81] op_sel:[0,1] op_sel_hi:[1,0] neg_lo:[0,1] neg_hi:[0,1]
	v_pk_add_f32 v[34:35], v[28:29], v[32:33]
	v_pk_add_f32 v[46:47], v[24:25], v[44:45] neg_lo:[0,1] neg_hi:[0,1]
	v_pk_add_f32 v[74:75], v[74:75], v[84:85] op_sel:[0,1] op_sel_hi:[1,0] neg_lo:[0,1] neg_hi:[0,1]
	v_pk_add_f32 v[80:81], v[88:89], v[84:85] op_sel:[0,1] op_sel_hi:[1,0]
	v_pk_add_f32 v[48:49], v[28:29], v[32:33] neg_lo:[0,1] neg_hi:[0,1]
	v_pk_add_f32 v[50:51], v[24:25], v[28:29] neg_lo:[0,1] neg_hi:[0,1]
	;; [unrolled: 1-line block ×3, first 2 shown]
	v_pk_fma_f32 v[34:35], v[34:35], 0.5, v[22:23] op_sel_hi:[1,0,1] neg_lo:[1,0,0] neg_hi:[1,0,0]
	v_pk_mul_f32 v[58:59], v[46:47], s[14:15] op_sel_hi:[1,0]
	v_mov_b32_e32 v84, v80
	v_mov_b32_e32 v85, v75
	v_pk_add_f32 v[26:27], v[76:77], v[52:53]
	v_pk_add_f32 v[30:31], v[22:23], v[24:25]
	v_pk_mul_f32 v[62:63], v[48:49], s[10:11] op_sel_hi:[1,0]
	v_pk_add_f32 v[50:51], v[50:51], v[54:55]
	v_pk_add_f32 v[54:55], v[34:35], v[58:59] op_sel:[0,1] op_sel_hi:[1,0]
	v_pk_add_f32 v[34:35], v[34:35], v[58:59] op_sel:[0,1] op_sel_hi:[1,0] neg_lo:[0,1] neg_hi:[0,1]
	v_pk_fma_f32 v[84:85], v[86:87], s[0:1], v[84:85] op_sel_hi:[1,0,1]
	v_pk_add_f32 v[26:27], v[26:27], v[56:57]
	v_pk_add_f32 v[30:31], v[30:31], v[28:29]
	v_pk_add_f32 v[34:35], v[34:35], v[62:63] op_sel:[0,1] op_sel_hi:[1,0] neg_lo:[0,1] neg_hi:[0,1]
	v_pk_add_f32 v[54:55], v[54:55], v[62:63] op_sel:[0,1] op_sel_hi:[1,0]
	v_pk_mul_f32 v[88:89], v[84:85], s[10:11] op_sel_hi:[1,0]
	v_pk_add_f32 v[26:27], v[26:27], v[60:61]
	v_pk_add_f32 v[30:31], v[30:31], v[32:33]
	v_mov_b32_e32 v62, v54
	v_mov_b32_e32 v63, v35
	v_pk_fma_f32 v[90:91], v[84:85], s[16:17], v[88:89] op_sel:[0,0,1] op_sel_hi:[1,0,0]
	v_pk_fma_f32 v[84:85], v[84:85], s[16:17], v[88:89] op_sel:[0,0,1] op_sel_hi:[1,0,0] neg_lo:[0,0,1] neg_hi:[0,0,1]
	v_pk_add_f32 v[26:27], v[26:27], v[70:71]
	v_pk_add_f32 v[30:31], v[30:31], v[44:45]
	v_pk_fma_f32 v[62:63], v[50:51], s[0:1], v[62:63] op_sel_hi:[1,0,1]
	v_mov_b32_e32 v91, v85
	v_pk_add_f32 v[58:59], v[30:31], v[26:27]
	v_pk_add_f32 v[84:85], v[62:63], v[90:91]
	ds_write2_b64 v135, v[58:59], v[84:85] offset1:17
	v_pk_add_f32 v[58:59], v[24:25], v[44:45]
	v_pk_add_f32 v[24:25], v[28:29], v[24:25] neg_lo:[0,1] neg_hi:[0,1]
	v_pk_add_f32 v[28:29], v[32:33], v[44:45] neg_lo:[0,1] neg_hi:[0,1]
	;; [unrolled: 1-line block ×4, first 2 shown]
	v_pk_fma_f32 v[22:23], v[58:59], 0.5, v[22:23] op_sel_hi:[1,0,1] neg_lo:[1,0,0] neg_hi:[1,0,0]
	v_pk_add_f32 v[32:33], v[32:33], v[44:45]
	v_pk_mul_f32 v[44:45], v[48:49], s[14:15] op_sel_hi:[1,0]
	v_pk_add_f32 v[24:25], v[24:25], v[28:29]
	v_pk_add_f32 v[28:29], v[52:53], v[70:71]
	v_pk_mul_f32 v[46:47], v[46:47], s[10:11] op_sel_hi:[1,0]
	v_pk_add_f32 v[48:49], v[22:23], v[44:45] op_sel:[0,1] op_sel_hi:[1,0] neg_lo:[0,1] neg_hi:[0,1]
	v_pk_fma_f32 v[28:29], v[28:29], 0.5, v[76:77] op_sel_hi:[1,0,1] neg_lo:[1,0,0] neg_hi:[1,0,0]
	v_pk_add_f32 v[22:23], v[22:23], v[44:45] op_sel:[0,1] op_sel_hi:[1,0]
	v_pk_add_f32 v[44:45], v[48:49], v[46:47] op_sel:[0,1] op_sel_hi:[1,0]
	v_pk_mul_f32 v[48:49], v[82:83], s[14:15] op_sel_hi:[1,0]
	v_pk_mul_f32 v[52:53], v[78:79], s[10:11] op_sel_hi:[1,0]
	v_pk_add_f32 v[56:57], v[28:29], v[48:49] op_sel:[0,1] op_sel_hi:[1,0] neg_lo:[0,1] neg_hi:[0,1]
	v_pk_add_f32 v[28:29], v[28:29], v[48:49] op_sel:[0,1] op_sel_hi:[1,0]
	v_pk_add_f32 v[48:49], v[56:57], v[52:53] op_sel:[0,1] op_sel_hi:[1,0]
	v_pk_add_f32 v[28:29], v[28:29], v[52:53] op_sel:[0,1] op_sel_hi:[1,0] neg_lo:[0,1] neg_hi:[0,1]
	v_pk_add_f32 v[22:23], v[22:23], v[46:47] op_sel:[0,1] op_sel_hi:[1,0] neg_lo:[0,1] neg_hi:[0,1]
	v_mov_b32_e32 v52, v48
	v_mov_b32_e32 v53, v29
	;; [unrolled: 1-line block ×4, first 2 shown]
	v_pk_fma_f32 v[52:53], v[32:33], s[0:1], v[52:53] op_sel_hi:[1,0,1]
	v_mov_b32_e32 v23, v45
	v_mov_b32_e32 v29, v49
	v_pk_fma_f32 v[46:47], v[24:25], s[0:1], v[46:47] op_sel_hi:[1,0,1]
	v_pk_mul_f32 v[56:57], v[52:53], s[14:15] op_sel_hi:[1,0]
	v_pk_fma_f32 v[22:23], v[24:25], s[0:1], v[22:23] op_sel_hi:[1,0,1]
	v_pk_fma_f32 v[24:25], v[32:33], s[0:1], v[28:29] op_sel_hi:[1,0,1]
	v_pk_fma_f32 v[58:59], v[52:53], s[0:1], v[56:57] op_sel:[0,0,1] op_sel_hi:[1,0,0]
	v_pk_fma_f32 v[52:53], v[52:53], s[0:1], v[56:57] op_sel:[0,0,1] op_sel_hi:[1,0,0] neg_lo:[0,0,1] neg_hi:[0,0,1]
	v_pk_mul_f32 v[28:29], v[24:25], s[0:1] op_sel_hi:[1,0]
	v_mov_b32_e32 v59, v53
	v_pk_fma_f32 v[24:25], v[24:25], s[18:19], v[28:29] op_sel:[0,0,1] op_sel_hi:[1,1,0] neg_lo:[0,0,1] neg_hi:[0,0,1]
	v_mov_b32_e32 v75, v81
	v_pk_add_f32 v[52:53], v[46:47], v[58:59]
	v_pk_add_f32 v[28:29], v[22:23], v[24:25] op_sel:[0,1] op_sel_hi:[1,0]
	v_mov_b32_e32 v35, v55
	v_pk_fma_f32 v[32:33], v[86:87], s[0:1], v[74:75] op_sel_hi:[1,0,1]
	ds_write2_b64 v135, v[52:53], v[28:29] offset0:34 offset1:51
	v_pk_fma_f32 v[28:29], v[50:51], s[0:1], v[34:35] op_sel_hi:[1,0,1]
	v_pk_mul_f32 v[34:35], v[32:33], s[16:17] op_sel_hi:[1,0]
	v_pk_add_f32 v[26:27], v[30:31], v[26:27] neg_lo:[0,1] neg_hi:[0,1]
	v_pk_fma_f32 v[32:33], v[32:33], s[20:21], v[34:35] op_sel:[0,0,1] op_sel_hi:[1,1,0] neg_lo:[0,0,1] neg_hi:[0,0,1]
	v_pk_add_f32 v[30:31], v[46:47], v[58:59] neg_lo:[0,1] neg_hi:[0,1]
	v_pk_add_f32 v[34:35], v[28:29], v[32:33] op_sel:[0,1] op_sel_hi:[1,0]
	ds_write2_b64 v135, v[34:35], v[26:27] offset0:68 offset1:85
	v_pk_add_f32 v[26:27], v[62:63], v[90:91] neg_lo:[0,1] neg_hi:[0,1]
	v_pk_add_f32 v[22:23], v[22:23], v[24:25] op_sel:[0,1] op_sel_hi:[1,0] neg_lo:[0,1] neg_hi:[0,1]
	v_pk_add_f32 v[24:25], v[28:29], v[32:33] op_sel:[0,1] op_sel_hi:[1,0] neg_lo:[0,1] neg_hi:[0,1]
	v_mad_u64_u32 v[44:45], s[22:23], v176, s1, v[20:21]
	ds_write2_b64 v135, v[26:27], v[30:31] offset0:102 offset1:119
	ds_write2_b64 v135, v[22:23], v[24:25] offset0:136 offset1:153
	s_waitcnt lgkmcnt(0)
	s_barrier
	global_load_dwordx4 v[32:35], v[44:45], off offset:1224
	global_load_dwordx4 v[28:31], v[44:45], off offset:1240
	global_load_dwordx4 v[24:27], v[44:45], off offset:1256
	global_load_dwordx4 v[20:23], v[44:45], off offset:1272
	global_load_dwordx2 v[70:71], v[44:45], off offset:1288
	ds_read2_b64 v[44:47], v64 offset1:170
	ds_read2_b64 v[48:51], v67 offset0:84 offset1:254
	ds_read2_b64 v[52:55], v65 offset0:40 offset1:210
	;; [unrolled: 1-line block ×4, first 2 shown]
	s_waitcnt vmcnt(4) lgkmcnt(4)
	v_pk_mul_f32 v[74:75], v[46:47], v[32:33] op_sel:[0,1]
	s_nop 0
	v_pk_fma_f32 v[76:77], v[46:47], v[32:33], v[74:75] op_sel:[0,0,1] op_sel_hi:[1,1,0] neg_lo:[0,0,1] neg_hi:[0,0,1]
	v_pk_fma_f32 v[46:47], v[46:47], v[32:33], v[74:75] op_sel:[0,0,1] op_sel_hi:[1,0,0]
	s_nop 0
	v_mov_b32_e32 v46, v35
	v_mov_b32_e32 v77, v47
	s_waitcnt lgkmcnt(3)
	v_pk_mul_f32 v[46:47], v[48:49], v[46:47] op_sel_hi:[1,0]
	s_nop 0
	v_pk_fma_f32 v[74:75], v[48:49], v[34:35], v[46:47] op_sel:[0,0,1] op_sel_hi:[1,1,0] neg_lo:[0,0,1] neg_hi:[0,0,1]
	v_pk_fma_f32 v[46:47], v[48:49], v[34:35], v[46:47] op_sel:[0,0,1] op_sel_hi:[1,0,0]
	s_nop 0
	v_mov_b32_e32 v75, v47
	s_waitcnt vmcnt(3)
	v_pk_mul_f32 v[46:47], v[50:51], v[28:29] op_sel:[0,1]
	s_nop 0
	v_pk_fma_f32 v[48:49], v[50:51], v[28:29], v[46:47] op_sel:[0,0,1] op_sel_hi:[1,1,0] neg_lo:[0,0,1] neg_hi:[0,0,1]
	v_pk_fma_f32 v[46:47], v[50:51], v[28:29], v[46:47] op_sel:[0,0,1] op_sel_hi:[1,0,0]
	s_nop 0
	v_mov_b32_e32 v46, v31
	v_mov_b32_e32 v49, v47
	s_waitcnt lgkmcnt(2)
	v_pk_mul_f32 v[46:47], v[52:53], v[46:47] op_sel_hi:[1,0]
	v_pk_add_f32 v[100:101], v[76:77], v[48:49]
	v_pk_fma_f32 v[50:51], v[52:53], v[30:31], v[46:47] op_sel:[0,0,1] op_sel_hi:[1,1,0] neg_lo:[0,0,1] neg_hi:[0,0,1]
	v_pk_fma_f32 v[46:47], v[52:53], v[30:31], v[46:47] op_sel:[0,0,1] op_sel_hi:[1,0,0]
	s_nop 0
	v_mov_b32_e32 v51, v47
	s_waitcnt vmcnt(2)
	v_pk_mul_f32 v[46:47], v[54:55], v[24:25] op_sel:[0,1]
	v_pk_add_f32 v[80:81], v[50:51], v[74:75] neg_lo:[0,1] neg_hi:[0,1]
	v_pk_fma_f32 v[52:53], v[54:55], v[24:25], v[46:47] op_sel:[0,0,1] op_sel_hi:[1,1,0] neg_lo:[0,0,1] neg_hi:[0,0,1]
	v_pk_fma_f32 v[46:47], v[54:55], v[24:25], v[46:47] op_sel:[0,0,1] op_sel_hi:[1,0,0]
	s_nop 0
	v_mov_b32_e32 v46, v27
	v_mov_b32_e32 v53, v47
	s_waitcnt lgkmcnt(1)
	v_pk_mul_f32 v[46:47], v[56:57], v[46:47] op_sel_hi:[1,0]
	v_pk_add_f32 v[96:97], v[52:53], v[48:49] neg_lo:[0,1] neg_hi:[0,1]
	v_pk_fma_f32 v[78:79], v[56:57], v[26:27], v[46:47] op_sel:[0,0,1] op_sel_hi:[1,1,0] neg_lo:[0,0,1] neg_hi:[0,0,1]
	v_pk_fma_f32 v[46:47], v[56:57], v[26:27], v[46:47] op_sel:[0,0,1] op_sel_hi:[1,0,0]
	v_pk_add_f32 v[100:101], v[100:101], v[52:53]
	v_mov_b32_e32 v79, v47
	s_waitcnt vmcnt(1)
	v_pk_mul_f32 v[46:47], v[58:59], v[20:21] op_sel:[0,1]
	s_nop 0
	v_pk_fma_f32 v[56:57], v[58:59], v[20:21], v[46:47] op_sel:[0,0,1] op_sel_hi:[1,1,0] neg_lo:[0,0,1] neg_hi:[0,0,1]
	v_pk_fma_f32 v[46:47], v[58:59], v[20:21], v[46:47] op_sel:[0,0,1] op_sel_hi:[1,0,0]
	s_nop 0
	v_mov_b32_e32 v46, v23
	v_mov_b32_e32 v57, v47
	s_waitcnt lgkmcnt(0)
	v_pk_mul_f32 v[46:47], v[60:61], v[46:47] op_sel_hi:[1,0]
	v_pk_add_f32 v[102:103], v[52:53], v[56:57]
	v_pk_fma_f32 v[58:59], v[60:61], v[22:23], v[46:47] op_sel:[0,0,1] op_sel_hi:[1,1,0] neg_lo:[0,0,1] neg_hi:[0,0,1]
	v_pk_fma_f32 v[46:47], v[60:61], v[22:23], v[46:47] op_sel:[0,0,1] op_sel_hi:[1,0,0]
	s_nop 0
	v_mov_b32_e32 v59, v47
	s_waitcnt vmcnt(0)
	v_pk_mul_f32 v[46:47], v[62:63], v[70:71] op_sel:[0,1]
	v_pk_add_f32 v[54:55], v[74:75], v[58:59]
	v_pk_fma_f32 v[60:61], v[62:63], v[70:71], v[46:47] op_sel:[0,0,1] op_sel_hi:[1,1,0] neg_lo:[0,0,1] neg_hi:[0,0,1]
	v_pk_fma_f32 v[46:47], v[62:63], v[70:71], v[46:47] op_sel:[0,0,1] op_sel_hi:[1,0,0]
	v_pk_add_f32 v[62:63], v[50:51], v[78:79] neg_lo:[0,1] neg_hi:[0,1]
	v_pk_fma_f32 v[54:55], v[54:55], 0.5, v[44:45] op_sel_hi:[1,0,1] neg_lo:[1,0,0] neg_hi:[1,0,0]
	v_mov_b32_e32 v61, v47
	v_pk_add_f32 v[46:47], v[74:75], v[58:59] neg_lo:[0,1] neg_hi:[0,1]
	v_pk_fma_f32 v[86:87], v[62:63], s[14:15], v[54:55] op_sel:[1,0,0] op_sel_hi:[0,0,1] neg_lo:[1,0,0] neg_hi:[1,0,0]
	v_pk_fma_f32 v[54:55], v[62:63], s[14:15], v[54:55] op_sel:[1,0,0] op_sel_hi:[0,0,1]
	v_pk_add_f32 v[82:83], v[78:79], v[58:59] neg_lo:[0,1] neg_hi:[0,1]
	v_pk_fma_f32 v[54:55], v[46:47], s[10:11], v[54:55] op_sel:[1,0,0] op_sel_hi:[0,0,1] neg_lo:[1,0,0] neg_hi:[1,0,0]
	v_pk_fma_f32 v[86:87], v[46:47], s[10:11], v[86:87] op_sel:[1,0,0] op_sel_hi:[0,0,1]
	v_pk_add_f32 v[80:81], v[80:81], v[82:83]
	v_pk_add_f32 v[82:83], v[44:45], v[74:75]
	v_mov_b32_e32 v88, v86
	v_mov_b32_e32 v89, v55
	;; [unrolled: 1-line block ×3, first 2 shown]
	v_pk_add_f32 v[90:91], v[48:49], v[60:61]
	v_pk_add_f32 v[82:83], v[82:83], v[50:51]
	v_pk_add_f32 v[74:75], v[74:75], v[50:51] neg_lo:[0,1] neg_hi:[0,1]
	v_pk_fma_f32 v[88:89], v[80:81], s[0:1], v[88:89] op_sel_hi:[1,0,1]
	v_pk_fma_f32 v[80:81], v[80:81], s[0:1], v[54:55] op_sel_hi:[1,0,1]
	v_pk_add_f32 v[54:55], v[48:49], v[60:61] neg_lo:[0,1] neg_hi:[0,1]
	v_pk_add_f32 v[86:87], v[52:53], v[56:57] neg_lo:[0,1] neg_hi:[0,1]
	v_pk_fma_f32 v[90:91], v[90:91], 0.5, v[76:77] op_sel_hi:[1,0,1] neg_lo:[1,0,0] neg_hi:[1,0,0]
	v_pk_add_f32 v[98:99], v[56:57], v[60:61] neg_lo:[0,1] neg_hi:[0,1]
	v_pk_add_f32 v[48:49], v[48:49], v[52:53] neg_lo:[0,1] neg_hi:[0,1]
	;; [unrolled: 1-line block ×3, first 2 shown]
	v_pk_add_f32 v[50:51], v[50:51], v[78:79]
	v_pk_fma_f32 v[92:93], v[86:87], s[14:15], v[90:91] op_sel:[1,0,0] op_sel_hi:[0,0,1]
	v_pk_add_f32 v[96:97], v[96:97], v[98:99]
	v_pk_fma_f32 v[76:77], v[102:103], 0.5, v[76:77] op_sel_hi:[1,0,1] neg_lo:[1,0,0] neg_hi:[1,0,0]
	v_pk_add_f32 v[52:53], v[48:49], v[52:53]
	v_pk_fma_f32 v[48:49], v[86:87], s[14:15], v[90:91] op_sel:[1,0,0] op_sel_hi:[0,0,1] neg_lo:[1,0,0] neg_hi:[1,0,0]
	v_pk_fma_f32 v[44:45], v[50:51], 0.5, v[44:45] op_sel_hi:[1,0,1] neg_lo:[1,0,0] neg_hi:[1,0,0]
	v_pk_mul_f32 v[94:95], v[54:55], s[10:11] op_sel:[1,0] op_sel_hi:[0,0]
	v_pk_fma_f32 v[92:93], v[54:55], s[10:11], v[92:93] op_sel:[1,0,0] op_sel_hi:[0,0,1] neg_lo:[1,0,0] neg_hi:[1,0,0]
	v_pk_mul_f32 v[98:99], v[96:97], s[0:1] op_sel_hi:[1,0]
	v_pk_fma_f32 v[102:103], v[54:55], s[14:15], v[76:77] op_sel:[1,0,0] op_sel_hi:[0,0,1]
	v_pk_fma_f32 v[76:77], v[54:55], s[14:15], v[76:77] op_sel:[1,0,0] op_sel_hi:[0,0,1] neg_lo:[1,0,0] neg_hi:[1,0,0]
	v_pk_fma_f32 v[54:55], v[54:55], s[10:11], v[48:49] op_sel:[1,0,0] op_sel_hi:[0,0,1]
	v_pk_fma_f32 v[50:51], v[46:47], s[14:15], v[44:45] op_sel:[1,0,0] op_sel_hi:[0,0,1]
	v_pk_fma_f32 v[44:45], v[46:47], s[14:15], v[44:45] op_sel:[1,0,0] op_sel_hi:[0,0,1] neg_lo:[1,0,0] neg_hi:[1,0,0]
	v_pk_add_f32 v[84:85], v[58:59], v[78:79] neg_lo:[0,1] neg_hi:[0,1]
	v_add_f32_e32 v92, v98, v92
	v_pk_fma_f32 v[102:103], v[86:87], s[10:11], v[102:103] op_sel:[1,0,0] op_sel_hi:[0,0,1]
	v_pk_fma_f32 v[76:77], v[86:87], s[10:11], v[76:77] op_sel:[1,0,0] op_sel_hi:[0,0,1] neg_lo:[1,0,0] neg_hi:[1,0,0]
	v_mov_b32_e32 v55, v93
	v_add_f32_e32 v48, v95, v49
	v_pk_add_f32 v[82:83], v[82:83], v[78:79]
	v_pk_fma_f32 v[78:79], v[62:63], s[10:11], v[44:45] op_sel:[1,0,0] op_sel_hi:[0,0,1] neg_lo:[1,0,0] neg_hi:[1,0,0]
	v_pk_fma_f32 v[44:45], v[62:63], s[10:11], v[50:51] op_sel:[1,0,0] op_sel_hi:[0,0,1]
	v_mov_b32_e32 v104, v102
	v_mov_b32_e32 v105, v77
	v_pk_fma_f32 v[54:55], v[96:97], s[0:1], v[54:55] op_sel_hi:[1,0,1]
	v_add_f32_e32 v77, v99, v48
	v_mul_f32_e32 v48, 0x3e9e377a, v92
	v_mov_b32_e32 v46, v44
	v_mov_b32_e32 v47, v79
	;; [unrolled: 1-line block ×3, first 2 shown]
	v_pk_add_f32 v[44:45], v[100:101], v[56:57]
	v_fma_f32 v86, v77, s14, -v48
	v_pk_mul_f32 v[48:49], v[54:55], s[14:15] op_sel_hi:[1,0]
	v_pk_add_f32 v[74:75], v[74:75], v[84:85]
	v_pk_add_f32 v[56:57], v[44:45], v[60:61]
	v_pk_fma_f32 v[44:45], v[52:53], s[0:1], v[104:105] op_sel_hi:[1,0,1]
	v_pk_fma_f32 v[90:91], v[54:55], s[0:1], v[48:49] op_sel:[0,0,1] op_sel_hi:[1,0,0]
	v_pk_fma_f32 v[48:49], v[54:55], s[0:1], v[48:49] op_sel:[0,0,1] op_sel_hi:[1,0,0] neg_lo:[0,0,1] neg_hi:[0,0,1]
	v_mul_f32_e32 v54, 0x3e9e377a, v77
	v_mov_b32_e32 v77, v103
	v_pk_fma_f32 v[62:63], v[74:75], s[0:1], v[46:47] op_sel_hi:[1,0,1]
	v_pk_mul_f32 v[46:47], v[44:45], s[10:11] op_sel_hi:[1,0]
	v_pk_fma_f32 v[76:77], v[52:53], s[0:1], v[76:77] op_sel_hi:[1,0,1]
	v_pk_fma_f32 v[52:53], v[44:45], s[16:17], v[46:47] op_sel:[0,0,1] op_sel_hi:[1,0,0]
	v_pk_fma_f32 v[44:45], v[44:45], s[16:17], v[46:47] op_sel:[0,0,1] op_sel_hi:[1,0,0] neg_lo:[0,0,1] neg_hi:[0,0,1]
	v_fma_f32 v87, v92, s18, -v54
	v_pk_mul_f32 v[92:93], v[76:77], s[20:21]
	v_mov_b32_e32 v53, v45
	v_mov_b32_e32 v91, v49
	v_pk_fma_f32 v[76:77], v[76:77], s[16:17], v[92:93] op_sel:[0,0,1] op_sel_hi:[1,0,0] neg_lo:[1,0,0] neg_hi:[1,0,0]
	v_pk_add_f32 v[58:59], v[82:83], v[58:59]
	v_pk_add_f32 v[46:47], v[62:63], v[52:53]
	v_pk_add_f32 v[52:53], v[62:63], v[52:53] neg_lo:[0,1] neg_hi:[0,1]
	v_pk_fma_f32 v[62:63], v[74:75], s[0:1], v[78:79] op_sel_hi:[1,0,1]
	v_pk_add_f32 v[48:49], v[88:89], v[90:91]
	v_pk_add_f32 v[54:55], v[88:89], v[90:91] neg_lo:[0,1] neg_hi:[0,1]
	v_pk_add_f32 v[44:45], v[58:59], v[56:57]
	v_pk_add_f32 v[50:51], v[80:81], v[86:87]
	v_pk_add_f32 v[58:59], v[58:59], v[56:57] neg_lo:[0,1] neg_hi:[0,1]
	v_pk_add_f32 v[56:57], v[62:63], v[76:77]
	v_pk_add_f32 v[60:61], v[80:81], v[86:87] neg_lo:[0,1] neg_hi:[0,1]
	v_pk_add_f32 v[62:63], v[62:63], v[76:77] neg_lo:[0,1] neg_hi:[0,1]
	ds_write2_b64 v64, v[44:45], v[46:47] offset1:170
	ds_write2_b64 v67, v[48:49], v[50:51] offset0:84 offset1:254
	ds_write2_b64 v65, v[56:57], v[58:59] offset0:40 offset1:210
	;; [unrolled: 1-line block ×4, first 2 shown]
	s_waitcnt lgkmcnt(0)
	s_barrier
	s_and_saveexec_b64 s[0:1], s[2:3]
	s_cbranch_execz .LBB0_9
; %bb.8:
	v_mov_b32_e32 v65, 0
	v_lshl_add_u64 v[74:75], s[8:9], 0, v[64:65]
	s_mov_b64 s[10:11], 0x3520
	v_add_co_u32_e32 v78, vcc, 0x3000, v74
	v_lshl_add_u64 v[76:77], v[74:75], 0, s[10:11]
	s_nop 0
	v_addc_co_u32_e32 v79, vcc, 0, v75, vcc
	global_load_dwordx2 v[80:81], v[76:77], off offset:800
	global_load_dwordx2 v[94:95], v[76:77], off offset:1600
	s_movk_i32 s10, 0x4000
	global_load_dwordx2 v[78:79], v[78:79], off offset:1312
	v_add_co_u32_e32 v82, vcc, s10, v74
	s_movk_i32 s10, 0x5000
	s_nop 0
	v_addc_co_u32_e32 v83, vcc, 0, v75, vcc
	global_load_dwordx2 v[96:97], v[76:77], off offset:2400
	global_load_dwordx2 v[98:99], v[76:77], off offset:3200
	;; [unrolled: 1-line block ×5, first 2 shown]
	v_add_co_u32_e32 v76, vcc, s10, v74
	global_load_dwordx2 v[106:107], v[82:83], off offset:3616
	s_nop 0
	v_addc_co_u32_e32 v77, vcc, 0, v75, vcc
	global_load_dwordx2 v[108:109], v[76:77], off offset:320
	global_load_dwordx2 v[112:113], v[76:77], off offset:1120
	;; [unrolled: 1-line block ×5, first 2 shown]
	s_movk_i32 s10, 0x6000
	v_add_co_u32_e32 v82, vcc, s10, v74
	v_add_u32_e32 v65, 0x400, v64
	s_nop 0
	v_addc_co_u32_e32 v83, vcc, 0, v75, vcc
	global_load_dwordx2 v[120:121], v[82:83], off offset:224
	global_load_dwordx2 v[122:123], v[82:83], off offset:1024
	;; [unrolled: 1-line block ×3, first 2 shown]
	ds_read2_b64 v[74:77], v64 offset1:100
	v_add_u32_e32 v73, 0x1000, v64
	v_add_u32_e32 v110, 0x1800, v64
	;; [unrolled: 1-line block ×3, first 2 shown]
	s_waitcnt vmcnt(16) lgkmcnt(0)
	v_mul_f32_e32 v82, v77, v81
	v_mul_f32_e32 v83, v76, v81
	v_fma_f32 v82, v76, v80, -v82
	s_waitcnt vmcnt(14)
	v_mul_f32_e32 v84, v75, v79
	v_mul_f32_e32 v81, v74, v79
	v_fmac_f32_e32 v83, v77, v80
	v_fma_f32 v80, v74, v78, -v84
	v_fmac_f32_e32 v81, v75, v78
	ds_write2_b64 v64, v[80:81], v[82:83] offset1:100
	ds_read2_b64 v[74:77], v65 offset0:72 offset1:172
	ds_read2_b64 v[78:81], v67 offset0:144 offset1:244
	;; [unrolled: 1-line block ×5, first 2 shown]
	s_waitcnt lgkmcnt(4)
	v_mul_f32_e32 v126, v75, v95
	v_mul_f32_e32 v127, v74, v95
	s_waitcnt vmcnt(13)
	v_mul_f32_e32 v128, v77, v97
	v_mul_f32_e32 v95, v76, v97
	s_waitcnt vmcnt(12) lgkmcnt(3)
	v_mul_f32_e32 v129, v79, v99
	v_mul_f32_e32 v97, v78, v99
	s_waitcnt vmcnt(9)
	v_mul_f32_e32 v130, v81, v105
	v_mul_f32_e32 v99, v80, v105
	s_waitcnt lgkmcnt(2)
	v_mul_f32_e32 v131, v83, v101
	v_mul_f32_e32 v105, v82, v101
	v_mul_f32_e32 v132, v85, v103
	v_mul_f32_e32 v101, v84, v103
	v_fma_f32 v126, v74, v94, -v126
	v_fmac_f32_e32 v127, v75, v94
	v_fma_f32 v94, v76, v96, -v128
	v_fmac_f32_e32 v95, v77, v96
	;; [unrolled: 2-line block ×6, first 2 shown]
	ds_write2_b64 v65, v[126:127], v[94:95] offset0:72 offset1:172
	ds_write2_b64 v67, v[96:97], v[98:99] offset0:144 offset1:244
	;; [unrolled: 1-line block ×3, first 2 shown]
	v_add_u32_e32 v67, 0x2400, v64
	ds_read2_b64 v[74:77], v67 offset0:48 offset1:148
	s_waitcnt vmcnt(6) lgkmcnt(4)
	v_mul_f32_e32 v65, v91, v113
	v_fma_f32 v78, v90, v112, -v65
	v_mul_f32_e32 v79, v90, v113
	s_waitcnt vmcnt(5)
	v_mul_f32_e32 v65, v93, v115
	v_mul_f32_e32 v81, v92, v115
	v_fmac_f32_e32 v79, v91, v112
	v_fma_f32 v80, v92, v114, -v65
	v_fmac_f32_e32 v81, v93, v114
	ds_write2_b64 v111, v[78:79], v[80:81] offset0:104 offset1:204
	s_waitcnt vmcnt(4) lgkmcnt(1)
	v_mul_f32_e32 v65, v75, v117
	v_mul_f32_e32 v83, v74, v117
	ds_read2_b64 v[78:81], v66 offset0:120 offset1:220
	v_fma_f32 v82, v74, v116, -v65
	v_fmac_f32_e32 v83, v75, v116
	s_waitcnt vmcnt(3)
	v_mul_f32_e32 v65, v77, v119
	v_mul_f32_e32 v75, v76, v119
	v_fma_f32 v74, v76, v118, -v65
	v_fmac_f32_e32 v75, v77, v118
	ds_read_b64 v[76:77], v64 offset:12800
	ds_write2_b64 v67, v[82:83], v[74:75] offset0:48 offset1:148
	s_waitcnt vmcnt(2) lgkmcnt(2)
	v_mul_f32_e32 v65, v79, v121
	v_mul_f32_e32 v75, v78, v121
	v_fma_f32 v74, v78, v120, -v65
	v_fmac_f32_e32 v75, v79, v120
	s_waitcnt vmcnt(1)
	v_mul_f32_e32 v65, v81, v123
	v_mul_f32_e32 v79, v80, v123
	;; [unrolled: 1-line block ×6, first 2 shown]
	v_fma_f32 v78, v80, v122, -v65
	v_fmac_f32_e32 v79, v81, v122
	s_waitcnt vmcnt(0) lgkmcnt(1)
	v_mul_f32_e32 v65, v77, v125
	v_mul_f32_e32 v67, v76, v125
	v_fma_f32 v102, v86, v106, -v133
	v_fmac_f32_e32 v103, v87, v106
	v_fma_f32 v106, v88, v108, -v134
	v_fmac_f32_e32 v107, v89, v108
	ds_write2_b64 v66, v[74:75], v[78:79] offset0:120 offset1:220
	v_fma_f32 v66, v76, v124, -v65
	v_fmac_f32_e32 v67, v77, v124
	ds_write2_b64 v110, v[102:103], v[106:107] offset0:32 offset1:132
	ds_write_b64 v64, v[66:67] offset:12800
.LBB0_9:
	s_or_b64 exec, exec, s[0:1]
	s_waitcnt lgkmcnt(0)
	s_barrier
	s_and_saveexec_b64 s[0:1], s[2:3]
	s_cbranch_execz .LBB0_11
; %bb.10:
	v_add_u32_e32 v16, 0x400, v64
	ds_read2_b64 v[48:51], v16 offset0:72 offset1:172
	v_add_u32_e32 v16, 0x800, v64
	ds_read2_b64 v[56:59], v16 offset0:144 offset1:244
	;; [unrolled: 2-line block ×6, first 2 shown]
	v_add_u32_e32 v16, 0x2800, v64
	ds_read2_b64 v[44:47], v64 offset1:100
	ds_read2_b64 v[16:19], v16 offset0:120 offset1:220
	ds_read_b64 v[172:173], v64 offset:12800
.LBB0_11:
	s_or_b64 exec, exec, s[0:1]
	v_mov_b32_e32 v108, v12
	v_mov_b32_e32 v109, v12
	;; [unrolled: 1-line block ×54, first 2 shown]
	s_waitcnt lgkmcnt(0)
	s_barrier
	s_and_saveexec_b64 s[0:1], s[2:3]
	s_cbranch_execz .LBB0_13
; %bb.12:
	v_pk_add_f32 v[66:67], v[46:47], v[44:45]
	v_pk_add_f32 v[204:205], v[46:47], v[172:173] neg_lo:[0,1] neg_hi:[0,1]
	v_pk_add_f32 v[66:67], v[48:49], v[66:67]
	s_mov_b32 s28, 0xbeb8f4ab
	v_pk_add_f32 v[66:67], v[50:51], v[66:67]
	v_pk_add_f32 v[202:203], v[172:173], v[46:47]
	v_pk_add_f32 v[66:67], v[56:57], v[66:67]
	v_pk_add_f32 v[200:201], v[48:49], v[18:19] neg_lo:[0,1] neg_hi:[0,1]
	v_pk_add_f32 v[66:67], v[58:59], v[66:67]
	v_pk_add_f32 v[190:191], v[16:17], v[50:51]
	;; [unrolled: 1-line block ×3, first 2 shown]
	v_pk_add_f32 v[196:197], v[50:51], v[16:17] neg_lo:[0,1] neg_hi:[0,1]
	v_pk_add_f32 v[66:67], v[54:55], v[66:67]
	s_mov_b32 s18, 0x3f6eb680
	v_pk_add_f32 v[66:67], v[60:61], v[66:67]
	s_mov_b32 s42, 0xbf2c7751
	v_pk_add_f32 v[66:67], v[62:63], v[66:67]
	v_pk_add_f32 v[198:199], v[18:19], v[48:49]
	;; [unrolled: 1-line block ×5, first 2 shown]
	v_pk_add_f32 v[180:181], v[58:59], v[36:37] neg_lo:[0,1] neg_hi:[0,1]
	v_pk_add_f32 v[66:67], v[36:37], v[66:67]
	v_pk_add_f32 v[158:159], v[40:41], v[54:55]
	;; [unrolled: 1-line block ×3, first 2 shown]
	v_pk_add_f32 v[164:165], v[54:55], v[40:41] neg_lo:[0,1] neg_hi:[0,1]
	v_pk_add_f32 v[66:67], v[16:17], v[66:67]
	v_pk_mul_f32 v[16:17], v[204:205], s[28:29] op_sel_hi:[1,0]
	v_pk_add_f32 v[66:67], v[18:19], v[66:67]
	v_pk_fma_f32 v[18:19], v[202:203], s[18:19], v[16:17] op_sel:[0,0,1] op_sel_hi:[1,0,0]
	v_pk_fma_f32 v[54:55], v[202:203], s[18:19], v[16:17] op_sel:[0,0,1] op_sel_hi:[1,0,0] neg_lo:[0,0,1] neg_hi:[0,0,1]
	s_mov_b32 s16, 0x3f3d2fb0
	v_pk_mul_f32 v[36:37], v[200:201], s[42:43] op_sel_hi:[1,0]
	v_mov_b32_e32 v16, v18
	v_accvgpr_write_b32 a3, v19
	v_mov_b32_e32 v17, v55
	v_pk_fma_f32 v[18:19], v[198:199], s[16:17], v[36:37] op_sel:[0,0,1] op_sel_hi:[1,0,0]
	v_pk_fma_f32 v[50:51], v[198:199], s[16:17], v[36:37] op_sel:[0,0,1] op_sel_hi:[1,0,0] neg_lo:[0,0,1] neg_hi:[0,0,1]
	v_pk_add_f32 v[16:17], v[44:45], v[16:17]
	v_mov_b32_e32 v36, v18
	v_mov_b32_e32 v37, v51
	s_mov_b32 s50, 0xbf65296c
	v_pk_add_f32 v[16:17], v[36:37], v[16:17]
	s_mov_b32 s14, 0x3ee437d1
	v_pk_mul_f32 v[36:37], v[196:197], s[50:51] op_sel_hi:[1,0]
	v_pk_add_f32 v[166:167], v[42:43], v[52:53]
	v_pk_add_f32 v[168:169], v[52:53], v[42:43] neg_lo:[0,1] neg_hi:[0,1]
	v_accvgpr_write_b32 a5, v19
	v_pk_fma_f32 v[18:19], v[190:191], s[14:15], v[36:37] op_sel:[0,0,1] op_sel_hi:[1,0,0]
	v_pk_fma_f32 v[42:43], v[190:191], s[14:15], v[36:37] op_sel:[0,0,1] op_sel_hi:[1,0,0] neg_lo:[0,0,1] neg_hi:[0,0,1]
	v_pk_add_f32 v[188:189], v[56:57], v[38:39] neg_lo:[0,1] neg_hi:[0,1]
	v_mov_b32_e32 v36, v18
	v_mov_b32_e32 v37, v43
	s_mov_b32 s40, 0xbf7ee86f
	v_pk_add_f32 v[182:183], v[38:39], v[56:57]
	v_pk_add_f32 v[16:17], v[36:37], v[16:17]
	s_mov_b32 s10, 0x3dbcf732
	v_pk_mul_f32 v[36:37], v[188:189], s[40:41] op_sel_hi:[1,0]
	v_accvgpr_write_b32 a7, v19
	v_pk_fma_f32 v[18:19], v[182:183], s[10:11], v[36:37] op_sel:[0,0,1] op_sel_hi:[1,0,0]
	v_pk_fma_f32 v[48:49], v[182:183], s[10:11], v[36:37] op_sel:[0,0,1] op_sel_hi:[1,0,0] neg_lo:[0,0,1] neg_hi:[0,0,1]
	v_mov_b32_e32 v36, v18
	v_mov_b32_e32 v37, v49
	s_mov_b32 s22, 0xbf763a35
	v_pk_add_f32 v[16:17], v[36:37], v[16:17]
	s_mov_b32 s20, 0xbe8c1d8e
	v_pk_mul_f32 v[36:37], v[180:181], s[22:23] op_sel_hi:[1,0]
	v_accvgpr_write_b32 a9, v19
	v_pk_fma_f32 v[18:19], v[174:175], s[20:21], v[36:37] op_sel:[0,0,1] op_sel_hi:[1,0,0]
	v_pk_fma_f32 v[52:53], v[174:175], s[20:21], v[36:37] op_sel:[0,0,1] op_sel_hi:[1,0,0] neg_lo:[0,0,1] neg_hi:[0,0,1]
	v_mov_b32_e32 v36, v18
	v_mov_b32_e32 v37, v53
	s_mov_b32 s26, 0xbf4c4adb
	v_pk_add_f32 v[16:17], v[36:37], v[16:17]
	s_mov_b32 s24, 0xbf1a4643
	v_pk_mul_f32 v[36:37], v[168:169], s[26:27] op_sel_hi:[1,0]
	v_accvgpr_write_b32 a11, v19
	v_pk_fma_f32 v[18:19], v[166:167], s[24:25], v[36:37] op_sel:[0,0,1] op_sel_hi:[1,0,0]
	v_pk_fma_f32 v[56:57], v[166:167], s[24:25], v[36:37] op_sel:[0,0,1] op_sel_hi:[1,0,0] neg_lo:[0,0,1] neg_hi:[0,0,1]
	v_mov_b32_e32 v36, v18
	v_mov_b32_e32 v37, v57
	v_pk_add_f32 v[16:17], v[36:37], v[16:17]
	s_mov_b32 s30, 0xbf59a7d5
	v_pk_mul_f32 v[36:37], v[164:165], s[34:35] op_sel_hi:[1,0]
	v_pk_add_f32 v[150:151], v[62:63], v[60:61]
	v_pk_add_f32 v[152:153], v[60:61], v[62:63] neg_lo:[0,1] neg_hi:[0,1]
	v_accvgpr_write_b32 a13, v19
	v_pk_fma_f32 v[18:19], v[158:159], s[30:31], v[36:37] op_sel:[0,0,1] op_sel_hi:[1,0,0]
	v_pk_fma_f32 v[60:61], v[158:159], s[30:31], v[36:37] op_sel:[0,0,1] op_sel_hi:[1,0,0] neg_lo:[0,0,1] neg_hi:[0,0,1]
	v_mov_b32_e32 v36, v18
	v_mov_b32_e32 v37, v61
	s_mov_b32 s38, 0xbe3c28d5
	v_pk_add_f32 v[16:17], v[36:37], v[16:17]
	s_mov_b32 s36, 0xbf7ba420
	v_pk_mul_f32 v[36:37], v[152:153], s[38:39] op_sel_hi:[1,0]
	v_lshlrev_b32_e32 v65, 3, v72
	v_accvgpr_write_b32 a15, v19
	v_pk_fma_f32 v[18:19], v[150:151], s[36:37], v[36:37] op_sel:[0,0,1] op_sel_hi:[1,0,0]
	v_pk_fma_f32 v[72:73], v[150:151], s[36:37], v[36:37] op_sel:[0,0,1] op_sel_hi:[1,0,0] neg_lo:[0,0,1] neg_hi:[0,0,1]
	v_mov_b32_e32 v36, v18
	v_mov_b32_e32 v37, v73
	v_pk_add_f32 v[66:67], v[172:173], v[66:67]
	v_pk_add_f32 v[16:17], v[36:37], v[16:17]
	ds_write2_b64 v65, v[66:67], v[16:17] offset1:1
	v_pk_mul_f32 v[16:17], v[204:205], s[42:43] op_sel_hi:[1,0]
	v_accvgpr_write_b32 a17, v19
	v_pk_fma_f32 v[18:19], v[202:203], s[16:17], v[16:17] op_sel:[0,0,1] op_sel_hi:[1,0,0]
	v_pk_fma_f32 v[112:113], v[202:203], s[16:17], v[16:17] op_sel:[0,0,1] op_sel_hi:[1,0,0] neg_lo:[0,0,1] neg_hi:[0,0,1]
	v_pk_mul_f32 v[36:37], v[200:201], s[40:41] op_sel_hi:[1,0]
	v_mov_b32_e32 v16, v18
	v_mov_b32_e32 v43, v19
	;; [unrolled: 1-line block ×3, first 2 shown]
	v_pk_fma_f32 v[18:19], v[198:199], s[10:11], v[36:37] op_sel:[0,0,1] op_sel_hi:[1,0,0]
	v_pk_fma_f32 v[116:117], v[198:199], s[10:11], v[36:37] op_sel:[0,0,1] op_sel_hi:[1,0,0] neg_lo:[0,0,1] neg_hi:[0,0,1]
	v_pk_add_f32 v[16:17], v[44:45], v[16:17]
	v_mov_b32_e32 v36, v18
	v_mov_b32_e32 v37, v117
	v_pk_add_f32 v[16:17], v[36:37], v[16:17]
	v_pk_mul_f32 v[36:37], v[196:197], s[26:27] op_sel_hi:[1,0]
	v_mov_b32_e32 v49, v19
	v_pk_fma_f32 v[18:19], v[190:191], s[24:25], v[36:37] op_sel:[0,0,1] op_sel_hi:[1,0,0]
	v_pk_fma_f32 v[120:121], v[190:191], s[24:25], v[36:37] op_sel:[0,0,1] op_sel_hi:[1,0,0] neg_lo:[0,0,1] neg_hi:[0,0,1]
	v_mov_b32_e32 v36, v18
	v_mov_b32_e32 v37, v121
	v_pk_add_f32 v[16:17], v[36:37], v[16:17]
	v_pk_mul_f32 v[36:37], v[188:189], s[38:39] op_sel_hi:[1,0]
	v_mov_b32_e32 v51, v19
	v_pk_fma_f32 v[18:19], v[182:183], s[36:37], v[36:37] op_sel:[0,0,1] op_sel_hi:[1,0,0]
	v_pk_fma_f32 v[124:125], v[182:183], s[36:37], v[36:37] op_sel:[0,0,1] op_sel_hi:[1,0,0] neg_lo:[0,0,1] neg_hi:[0,0,1]
	v_mov_b32_e32 v36, v18
	v_mov_b32_e32 v37, v125
	s_mov_b32 s54, 0x3f06c442
	v_pk_add_f32 v[16:17], v[36:37], v[16:17]
	v_pk_mul_f32 v[36:37], v[180:181], s[54:55] op_sel_hi:[1,0]
	v_mov_b32_e32 v53, v19
	v_pk_fma_f32 v[18:19], v[174:175], s[30:31], v[36:37] op_sel:[0,0,1] op_sel_hi:[1,0,0]
	v_pk_fma_f32 v[128:129], v[174:175], s[30:31], v[36:37] op_sel:[0,0,1] op_sel_hi:[1,0,0] neg_lo:[0,0,1] neg_hi:[0,0,1]
	v_mov_b32_e32 v36, v18
	v_mov_b32_e32 v37, v129
	s_mov_b32 s52, 0x3f763a35
	;; [unrolled: 8-line block ×4, first 2 shown]
	v_pk_add_f32 v[16:17], v[36:37], v[16:17]
	v_pk_mul_f32 v[36:37], v[152:153], s[46:47] op_sel_hi:[1,0]
	v_mov_b32_e32 v61, v19
	v_pk_fma_f32 v[18:19], v[150:151], s[18:19], v[36:37] op_sel:[0,0,1] op_sel_hi:[1,0,0]
	v_pk_fma_f32 v[140:141], v[150:151], s[18:19], v[36:37] op_sel:[0,0,1] op_sel_hi:[1,0,0] neg_lo:[0,0,1] neg_hi:[0,0,1]
	v_mov_b32_e32 v36, v18
	v_mov_b32_e32 v37, v141
	v_pk_add_f32 v[16:17], v[36:37], v[16:17]
	v_pk_mul_f32 v[36:37], v[204:205], s[50:51] op_sel_hi:[1,0]
	v_mov_b32_e32 v73, v19
	v_pk_fma_f32 v[18:19], v[202:203], s[14:15], v[36:37] op_sel:[0,0,1] op_sel_hi:[1,0,0]
	v_pk_fma_f32 v[144:145], v[202:203], s[14:15], v[36:37] op_sel:[0,0,1] op_sel_hi:[1,0,0] neg_lo:[0,0,1] neg_hi:[0,0,1]
	v_pk_mul_f32 v[40:41], v[200:201], s[26:27] op_sel_hi:[1,0]
	v_mov_b32_e32 v36, v18
	v_mov_b32_e32 v113, v19
	;; [unrolled: 1-line block ×3, first 2 shown]
	v_pk_fma_f32 v[18:19], v[198:199], s[24:25], v[40:41] op_sel:[0,0,1] op_sel_hi:[1,0,0]
	v_pk_fma_f32 v[148:149], v[198:199], s[24:25], v[40:41] op_sel:[0,0,1] op_sel_hi:[1,0,0] neg_lo:[0,0,1] neg_hi:[0,0,1]
	v_pk_add_f32 v[36:37], v[44:45], v[36:37]
	v_mov_b32_e32 v40, v18
	v_mov_b32_e32 v41, v149
	s_mov_b32 s48, 0x3e3c28d5
	v_pk_add_f32 v[36:37], v[40:41], v[36:37]
	v_pk_mul_f32 v[40:41], v[196:197], s[48:49] op_sel_hi:[1,0]
	v_mov_b32_e32 v117, v19
	v_pk_fma_f32 v[18:19], v[190:191], s[36:37], v[40:41] op_sel:[0,0,1] op_sel_hi:[1,0,0]
	v_pk_fma_f32 v[156:157], v[190:191], s[36:37], v[40:41] op_sel:[0,0,1] op_sel_hi:[1,0,0] neg_lo:[0,0,1] neg_hi:[0,0,1]
	v_mov_b32_e32 v40, v18
	v_mov_b32_e32 v41, v157
	v_pk_add_f32 v[36:37], v[40:41], v[36:37]
	v_pk_mul_f32 v[40:41], v[188:189], s[52:53] op_sel_hi:[1,0]
	v_mov_b32_e32 v121, v19
	v_pk_fma_f32 v[18:19], v[182:183], s[20:21], v[40:41] op_sel:[0,0,1] op_sel_hi:[1,0,0]
	v_pk_fma_f32 v[162:163], v[182:183], s[20:21], v[40:41] op_sel:[0,0,1] op_sel_hi:[1,0,0] neg_lo:[0,0,1] neg_hi:[0,0,1]
	v_mov_b32_e32 v40, v18
	v_mov_b32_e32 v41, v163
	s_mov_b32 s48, 0x3f2c7751
	v_pk_add_f32 v[36:37], v[40:41], v[36:37]
	v_pk_mul_f32 v[40:41], v[180:181], s[48:49] op_sel_hi:[1,0]
	v_mov_b32_e32 v125, v19
	v_pk_fma_f32 v[18:19], v[174:175], s[16:17], v[40:41] op_sel:[0,0,1] op_sel_hi:[1,0,0]
	v_pk_fma_f32 v[172:173], v[174:175], s[16:17], v[40:41] op_sel:[0,0,1] op_sel_hi:[1,0,0] neg_lo:[0,0,1] neg_hi:[0,0,1]
	v_mov_b32_e32 v40, v18
	v_mov_b32_e32 v41, v173
	v_pk_add_f32 v[36:37], v[40:41], v[36:37]
	v_pk_mul_f32 v[40:41], v[168:169], s[28:29] op_sel_hi:[1,0]
	v_mov_b32_e32 v129, v19
	v_pk_fma_f32 v[18:19], v[166:167], s[18:19], v[40:41] op_sel:[0,0,1] op_sel_hi:[1,0,0]
	v_pk_fma_f32 v[178:179], v[166:167], s[18:19], v[40:41] op_sel:[0,0,1] op_sel_hi:[1,0,0] neg_lo:[0,0,1] neg_hi:[0,0,1]
	v_mov_b32_e32 v40, v18
	v_mov_b32_e32 v41, v179
	;; [unrolled: 7-line block ×4, first 2 shown]
	v_pk_add_f32 v[36:37], v[40:41], v[36:37]
	ds_write2_b64 v65, v[16:17], v[36:37] offset0:2 offset1:3
	v_pk_mul_f32 v[16:17], v[204:205], s[40:41] op_sel_hi:[1,0]
	v_mov_b32_e32 v141, v19
	v_pk_fma_f32 v[18:19], v[202:203], s[10:11], v[16:17] op_sel:[0,0,1] op_sel_hi:[1,0,0]
	v_pk_fma_f32 v[208:209], v[202:203], s[10:11], v[16:17] op_sel:[0,0,1] op_sel_hi:[1,0,0] neg_lo:[0,0,1] neg_hi:[0,0,1]
	v_pk_mul_f32 v[36:37], v[200:201], s[38:39] op_sel_hi:[1,0]
	v_mov_b32_e32 v16, v18
	v_mov_b32_e32 v145, v19
	;; [unrolled: 1-line block ×3, first 2 shown]
	v_pk_fma_f32 v[18:19], v[198:199], s[36:37], v[36:37] op_sel:[0,0,1] op_sel_hi:[1,0,0]
	v_pk_fma_f32 v[212:213], v[198:199], s[36:37], v[36:37] op_sel:[0,0,1] op_sel_hi:[1,0,0] neg_lo:[0,0,1] neg_hi:[0,0,1]
	v_pk_add_f32 v[16:17], v[44:45], v[16:17]
	v_mov_b32_e32 v36, v18
	v_mov_b32_e32 v37, v213
	v_pk_add_f32 v[16:17], v[36:37], v[16:17]
	v_pk_mul_f32 v[36:37], v[196:197], s[52:53] op_sel_hi:[1,0]
	v_mov_b32_e32 v149, v19
	v_pk_fma_f32 v[18:19], v[190:191], s[20:21], v[36:37] op_sel:[0,0,1] op_sel_hi:[1,0,0]
	v_pk_fma_f32 v[216:217], v[190:191], s[20:21], v[36:37] op_sel:[0,0,1] op_sel_hi:[1,0,0] neg_lo:[0,0,1] neg_hi:[0,0,1]
	v_mov_b32_e32 v36, v18
	v_mov_b32_e32 v37, v217
	v_pk_add_f32 v[16:17], v[36:37], v[16:17]
	v_pk_mul_f32 v[36:37], v[188:189], s[46:47] op_sel_hi:[1,0]
	v_mov_b32_e32 v157, v19
	v_pk_fma_f32 v[18:19], v[182:183], s[18:19], v[36:37] op_sel:[0,0,1] op_sel_hi:[1,0,0]
	v_pk_fma_f32 v[220:221], v[182:183], s[18:19], v[36:37] op_sel:[0,0,1] op_sel_hi:[1,0,0] neg_lo:[0,0,1] neg_hi:[0,0,1]
	;; [unrolled: 7-line block ×4, first 2 shown]
	v_mov_b32_e32 v36, v18
	v_mov_b32_e32 v37, v229
	s_mov_b32 s56, 0x3f4c4adb
	v_pk_add_f32 v[16:17], v[36:37], v[16:17]
	v_pk_mul_f32 v[36:37], v[164:165], s[56:57] op_sel_hi:[1,0]
	v_mov_b32_e32 v179, v19
	v_pk_fma_f32 v[18:19], v[158:159], s[24:25], v[36:37] op_sel:[0,0,1] op_sel_hi:[1,0,0]
	v_pk_fma_f32 v[232:233], v[158:159], s[24:25], v[36:37] op_sel:[0,0,1] op_sel_hi:[1,0,0] neg_lo:[0,0,1] neg_hi:[0,0,1]
	v_mov_b32_e32 v36, v18
	v_mov_b32_e32 v37, v233
	v_pk_add_f32 v[16:17], v[36:37], v[16:17]
	v_pk_mul_f32 v[36:37], v[152:153], s[48:49] op_sel_hi:[1,0]
	v_mov_b32_e32 v187, v19
	v_pk_fma_f32 v[18:19], v[150:151], s[16:17], v[36:37] op_sel:[0,0,1] op_sel_hi:[1,0,0]
	v_pk_fma_f32 v[236:237], v[150:151], s[16:17], v[36:37] op_sel:[0,0,1] op_sel_hi:[1,0,0] neg_lo:[0,0,1] neg_hi:[0,0,1]
	v_mov_b32_e32 v36, v18
	v_mov_b32_e32 v37, v237
	v_pk_add_f32 v[110:111], v[36:37], v[16:17]
	v_pk_mul_f32 v[16:17], v[204:205], s[22:23] op_sel_hi:[1,0]
	v_mov_b32_e32 v195, v19
	v_pk_fma_f32 v[18:19], v[202:203], s[20:21], v[16:17] op_sel:[0,0,1] op_sel_hi:[1,0,0]
	v_pk_fma_f32 v[240:241], v[202:203], s[20:21], v[16:17] op_sel:[0,0,1] op_sel_hi:[1,0,0] neg_lo:[0,0,1] neg_hi:[0,0,1]
	v_pk_mul_f32 v[36:37], v[200:201], s[54:55] op_sel_hi:[1,0]
	v_mov_b32_e32 v16, v18
	v_mov_b32_e32 v209, v19
	;; [unrolled: 1-line block ×3, first 2 shown]
	v_pk_fma_f32 v[18:19], v[198:199], s[30:31], v[36:37] op_sel:[0,0,1] op_sel_hi:[1,0,0]
	v_pk_fma_f32 v[244:245], v[198:199], s[30:31], v[36:37] op_sel:[0,0,1] op_sel_hi:[1,0,0] neg_lo:[0,0,1] neg_hi:[0,0,1]
	v_pk_add_f32 v[16:17], v[44:45], v[16:17]
	v_mov_b32_e32 v36, v18
	v_mov_b32_e32 v37, v245
	v_pk_add_f32 v[16:17], v[36:37], v[16:17]
	v_pk_mul_f32 v[36:37], v[196:197], s[48:49] op_sel_hi:[1,0]
	v_mov_b32_e32 v213, v19
	v_pk_fma_f32 v[18:19], v[190:191], s[16:17], v[36:37] op_sel:[0,0,1] op_sel_hi:[1,0,0]
	v_pk_fma_f32 v[248:249], v[190:191], s[16:17], v[36:37] op_sel:[0,0,1] op_sel_hi:[1,0,0] neg_lo:[0,0,1] neg_hi:[0,0,1]
	v_mov_b32_e32 v36, v18
	v_mov_b32_e32 v37, v249
	v_pk_add_f32 v[16:17], v[36:37], v[16:17]
	v_pk_mul_f32 v[36:37], v[188:189], s[50:51] op_sel_hi:[1,0]
	v_mov_b32_e32 v217, v19
	v_pk_fma_f32 v[18:19], v[182:183], s[14:15], v[36:37] op_sel:[0,0,1] op_sel_hi:[1,0,0]
	v_pk_fma_f32 v[252:253], v[182:183], s[14:15], v[36:37] op_sel:[0,0,1] op_sel_hi:[1,0,0] neg_lo:[0,0,1] neg_hi:[0,0,1]
	;; [unrolled: 7-line block ×3, first 2 shown]
	v_mov_b32_e32 v36, v18
	v_mov_b32_e32 v37, v255
	s_mov_b32 s50, 0x3f7ee86f
	v_pk_add_f32 v[16:17], v[36:37], v[16:17]
	v_pk_mul_f32 v[36:37], v[168:169], s[50:51] op_sel_hi:[1,0]
	v_mov_b32_e32 v225, v19
	v_pk_fma_f32 v[18:19], v[166:167], s[10:11], v[36:37] op_sel:[0,0,1] op_sel_hi:[1,0,0]
	v_pk_fma_f32 v[66:67], v[166:167], s[10:11], v[36:37] op_sel:[0,0,1] op_sel_hi:[1,0,0] neg_lo:[0,0,1] neg_hi:[0,0,1]
	v_mov_b32_e32 v36, v18
	v_mov_b32_e32 v37, v67
	v_pk_add_f32 v[36:37], v[36:37], v[16:17]
	v_pk_mul_f32 v[16:17], v[164:165], s[28:29] op_sel_hi:[1,0]
	v_pk_mul_f32 v[226:227], v[200:201], s[44:45] op_sel_hi:[1,0]
	v_pk_fma_f32 v[40:41], v[158:159], s[18:19], v[16:17] op_sel:[0,0,1] op_sel_hi:[1,0,0]
	v_pk_fma_f32 v[16:17], v[158:159], s[18:19], v[16:17] op_sel:[0,0,1] op_sel_hi:[1,0,0] neg_lo:[0,0,1] neg_hi:[0,0,1]
	v_mov_b32_e32 v233, v41
	v_mov_b32_e32 v41, v17
	v_pk_add_f32 v[130:131], v[40:41], v[36:37]
	v_pk_mul_f32 v[36:37], v[152:153], s[26:27] op_sel_hi:[1,0]
	v_mov_b32_e32 v17, v135
	v_pk_fma_f32 v[40:41], v[150:151], s[24:25], v[36:37] op_sel:[0,0,1] op_sel_hi:[1,0,0]
	v_pk_fma_f32 v[36:37], v[150:151], s[24:25], v[36:37] op_sel:[0,0,1] op_sel_hi:[1,0,0] neg_lo:[0,0,1] neg_hi:[0,0,1]
	v_mov_b32_e32 v237, v41
	v_mov_b32_e32 v41, v37
	v_pk_add_f32 v[40:41], v[40:41], v[130:131]
	ds_write2_b64 v65, v[110:111], v[40:41] offset0:4 offset1:5
	v_pk_mul_f32 v[40:41], v[204:205], s[26:27] op_sel_hi:[1,0]
	v_pk_mul_f32 v[134:135], v[200:201], s[52:53] op_sel_hi:[1,0]
	v_pk_fma_f32 v[130:131], v[202:203], s[24:25], v[40:41] op_sel:[0,0,1] op_sel_hi:[1,0,0]
	v_pk_fma_f32 v[40:41], v[202:203], s[24:25], v[40:41] op_sel:[0,0,1] op_sel_hi:[1,0,0] neg_lo:[0,0,1] neg_hi:[0,0,1]
	v_mov_b32_e32 v37, v131
	v_mov_b32_e32 v131, v41
	v_pk_fma_f32 v[110:111], v[198:199], s[20:21], v[134:135] op_sel:[0,0,1] op_sel_hi:[1,0,0]
	v_pk_fma_f32 v[134:135], v[198:199], s[20:21], v[134:135] op_sel:[0,0,1] op_sel_hi:[1,0,0] neg_lo:[0,0,1] neg_hi:[0,0,1]
	v_pk_add_f32 v[130:131], v[44:45], v[130:131]
	v_mov_b32_e32 v46, v110
	v_mov_b32_e32 v47, v135
	v_pk_add_f32 v[46:47], v[46:47], v[130:131]
	v_pk_mul_f32 v[130:131], v[196:197], s[28:29] op_sel_hi:[1,0]
	v_pk_fma_f32 v[234:235], v[198:199], s[14:15], v[226:227] op_sel:[0,0,1] op_sel_hi:[1,0,0]
	v_pk_fma_f32 v[62:63], v[190:191], s[18:19], v[130:131] op_sel:[0,0,1] op_sel_hi:[1,0,0]
	v_pk_fma_f32 v[130:131], v[190:191], s[18:19], v[130:131] op_sel:[0,0,1] op_sel_hi:[1,0,0] neg_lo:[0,0,1] neg_hi:[0,0,1]
	v_mov_b32_e32 v138, v62
	v_mov_b32_e32 v139, v131
	v_pk_add_f32 v[46:47], v[138:139], v[46:47]
	v_pk_mul_f32 v[138:139], v[188:189], s[34:35] op_sel_hi:[1,0]
	v_pk_fma_f32 v[226:227], v[198:199], s[14:15], v[226:227] op_sel:[0,0,1] op_sel_hi:[1,0,0] neg_lo:[0,0,1] neg_hi:[0,0,1]
	v_pk_fma_f32 v[58:59], v[182:183], s[30:31], v[138:139] op_sel:[0,0,1] op_sel_hi:[1,0,0]
	v_pk_fma_f32 v[138:139], v[182:183], s[30:31], v[138:139] op_sel:[0,0,1] op_sel_hi:[1,0,0] neg_lo:[0,0,1] neg_hi:[0,0,1]
	v_mov_b32_e32 v146, v58
	v_mov_b32_e32 v147, v139
	v_pk_add_f32 v[46:47], v[146:147], v[46:47]
	v_pk_mul_f32 v[146:147], v[180:181], s[50:51] op_sel_hi:[1,0]
	v_mov_b32_e32 v230, v234
	v_pk_fma_f32 v[170:171], v[174:175], s[10:11], v[146:147] op_sel:[0,0,1] op_sel_hi:[1,0,0]
	v_pk_fma_f32 v[146:147], v[174:175], s[10:11], v[146:147] op_sel:[0,0,1] op_sel_hi:[1,0,0] neg_lo:[0,0,1] neg_hi:[0,0,1]
	v_mov_b32_e32 v160, v170
	v_mov_b32_e32 v161, v147
	v_pk_add_f32 v[46:47], v[160:161], v[46:47]
	v_pk_mul_f32 v[160:161], v[168:169], s[42:43] op_sel_hi:[1,0]
	v_mov_b32_e32 v231, v227
	;; [unrolled: 7-line block ×5, first 2 shown]
	v_pk_fma_f32 v[222:223], v[202:203], s[30:31], v[210:211] op_sel:[0,0,1] op_sel_hi:[1,0,0]
	v_pk_fma_f32 v[210:211], v[202:203], s[30:31], v[210:211] op_sel:[0,0,1] op_sel_hi:[1,0,0] neg_lo:[0,0,1] neg_hi:[0,0,1]
	v_mov_b32_e32 v218, v222
	v_mov_b32_e32 v219, v211
	v_pk_add_f32 v[218:219], v[44:45], v[218:219]
	v_mov_b32_e32 v211, v223
	v_pk_add_f32 v[218:219], v[230:231], v[218:219]
	v_pk_mul_f32 v[230:231], v[196:197], s[40:41] op_sel_hi:[1,0]
	v_pk_mul_f32 v[196:197], v[196:197], s[34:35] op_sel_hi:[1,0]
	v_pk_fma_f32 v[242:243], v[190:191], s[10:11], v[230:231] op_sel:[0,0,1] op_sel_hi:[1,0,0]
	v_pk_fma_f32 v[230:231], v[190:191], s[10:11], v[230:231] op_sel:[0,0,1] op_sel_hi:[1,0,0] neg_lo:[0,0,1] neg_hi:[0,0,1]
	v_mov_b32_e32 v238, v242
	v_mov_b32_e32 v239, v231
	v_pk_add_f32 v[218:219], v[238:239], v[218:219]
	v_pk_mul_f32 v[238:239], v[188:189], s[56:57] op_sel_hi:[1,0]
	v_pk_mul_f32 v[188:189], v[188:189], s[48:49] op_sel_hi:[1,0]
	v_pk_fma_f32 v[250:251], v[182:183], s[24:25], v[238:239] op_sel:[0,0,1] op_sel_hi:[1,0,0]
	v_pk_fma_f32 v[238:239], v[182:183], s[24:25], v[238:239] op_sel:[0,0,1] op_sel_hi:[1,0,0] neg_lo:[0,0,1] neg_hi:[0,0,1]
	v_mov_b32_e32 v246, v250
	;; [unrolled: 7-line block ×6, first 2 shown]
	v_mov_b32_e32 v115, v123
	v_pk_add_f32 v[18:19], v[114:115], v[18:19]
	ds_write2_b64 v65, v[46:47], v[18:19] offset0:6 offset1:7
	v_pk_mul_f32 v[18:19], v[204:205], s[38:39] op_sel_hi:[1,0]
	v_pk_mul_f32 v[114:115], v[200:201], s[46:47] op_sel_hi:[1,0]
	v_pk_fma_f32 v[46:47], v[202:203], s[36:37], v[18:19] op_sel:[0,0,1] op_sel_hi:[1,0,0]
	v_pk_fma_f32 v[18:19], v[202:203], s[36:37], v[18:19] op_sel:[0,0,1] op_sel_hi:[1,0,0] neg_lo:[0,0,1] neg_hi:[0,0,1]
	v_pk_fma_f32 v[200:201], v[198:199], s[18:19], v[114:115] op_sel:[0,0,1] op_sel_hi:[1,0,0]
	v_pk_fma_f32 v[114:115], v[198:199], s[18:19], v[114:115] op_sel:[0,0,1] op_sel_hi:[1,0,0] neg_lo:[0,0,1] neg_hi:[0,0,1]
	v_mov_b32_e32 v198, v46
	v_mov_b32_e32 v199, v19
	v_pk_add_f32 v[198:199], v[44:45], v[198:199]
	v_mov_b32_e32 v202, v200
	v_mov_b32_e32 v203, v115
	v_pk_add_f32 v[198:199], v[202:203], v[198:199]
	v_pk_fma_f32 v[202:203], v[190:191], s[30:31], v[196:197] op_sel:[0,0,1] op_sel_hi:[1,0,0]
	v_pk_fma_f32 v[190:191], v[190:191], s[30:31], v[196:197] op_sel:[0,0,1] op_sel_hi:[1,0,0] neg_lo:[0,0,1] neg_hi:[0,0,1]
	v_mov_b32_e32 v196, v202
	v_mov_b32_e32 v197, v191
	v_pk_add_f32 v[196:197], v[196:197], v[198:199]
	v_pk_fma_f32 v[198:199], v[182:183], s[16:17], v[188:189] op_sel:[0,0,1] op_sel_hi:[1,0,0]
	v_pk_fma_f32 v[182:183], v[182:183], s[16:17], v[188:189] op_sel:[0,0,1] op_sel_hi:[1,0,0] neg_lo:[0,0,1] neg_hi:[0,0,1]
	;; [unrolled: 5-line block ×3, first 2 shown]
	v_mov_b32_e32 v19, v47
	v_mov_b32_e32 v180, v196
	;; [unrolled: 1-line block ×4, first 2 shown]
	v_pk_add_f32 v[18:19], v[44:45], v[18:19]
	v_pk_add_f32 v[180:181], v[180:181], v[188:189]
	v_pk_fma_f32 v[188:189], v[166:167], s[14:15], v[168:169] op_sel:[0,0,1] op_sel_hi:[1,0,0]
	v_pk_fma_f32 v[166:167], v[166:167], s[14:15], v[168:169] op_sel:[0,0,1] op_sel_hi:[1,0,0] neg_lo:[0,0,1] neg_hi:[0,0,1]
	v_pk_add_f32 v[18:19], v[114:115], v[18:19]
	v_mov_b32_e32 v191, v203
	v_mov_b32_e32 v168, v188
	v_mov_b32_e32 v169, v167
	v_pk_add_f32 v[18:19], v[190:191], v[18:19]
	v_mov_b32_e32 v183, v199
	v_pk_add_f32 v[168:169], v[168:169], v[180:181]
	v_pk_fma_f32 v[180:181], v[158:159], s[20:21], v[164:165] op_sel:[0,0,1] op_sel_hi:[1,0,0]
	v_pk_fma_f32 v[158:159], v[158:159], s[20:21], v[164:165] op_sel:[0,0,1] op_sel_hi:[1,0,0] neg_lo:[0,0,1] neg_hi:[0,0,1]
	v_pk_add_f32 v[18:19], v[182:183], v[18:19]
	v_mov_b32_e32 v175, v197
	v_mov_b32_e32 v164, v180
	v_mov_b32_e32 v165, v159
	v_pk_add_f32 v[18:19], v[174:175], v[18:19]
	v_mov_b32_e32 v167, v189
	;; [unrolled: 9-line block ×3, first 2 shown]
	v_pk_add_f32 v[152:153], v[152:153], v[164:165]
	v_pk_add_f32 v[18:19], v[150:151], v[18:19]
	ds_write2_b64 v65, v[152:153], v[18:19] offset0:8 offset1:9
	v_pk_add_f32 v[18:19], v[44:45], v[210:211]
	v_mov_b32_e32 v247, v39
	v_pk_add_f32 v[38:39], v[44:45], v[40:41]
	v_mov_b32_e32 v135, v111
	;; [unrolled: 2-line block ×6, first 2 shown]
	v_pk_add_f32 v[18:19], v[238:239], v[18:19]
	v_pk_add_f32 v[38:39], v[138:139], v[38:39]
	v_mov_b32_e32 v147, v171
	v_pk_add_f32 v[18:19], v[246:247], v[18:19]
	v_mov_b32_e32 v219, v127
	;; [unrolled: 2-line block ×7, first 2 shown]
	v_pk_add_f32 v[18:19], v[122:123], v[18:19]
	v_pk_add_f32 v[38:39], v[192:193], v[38:39]
	v_mov_b32_e32 v241, v209
	ds_write2_b64 v65, v[18:19], v[38:39] offset0:10 offset1:11
	v_pk_add_f32 v[18:19], v[44:45], v[240:241]
	v_mov_b32_e32 v245, v213
	v_pk_add_f32 v[18:19], v[244:245], v[18:19]
	v_mov_b32_e32 v249, v217
	;; [unrolled: 2-line block ×5, first 2 shown]
	v_mov_b32_e32 v135, v17
	v_pk_add_f32 v[18:19], v[66:67], v[18:19]
	v_mov_b32_e32 v17, v233
	v_mov_b32_e32 v209, v145
	v_pk_add_f32 v[16:17], v[16:17], v[18:19]
	v_pk_add_f32 v[18:19], v[44:45], v[208:209]
	v_mov_b32_e32 v213, v149
	v_pk_add_f32 v[18:19], v[212:213], v[18:19]
	v_mov_b32_e32 v217, v157
	;; [unrolled: 2-line block ×6, first 2 shown]
	v_mov_b32_e32 v37, v237
	v_pk_add_f32 v[18:19], v[232:233], v[18:19]
	v_mov_b32_e32 v237, v195
	v_pk_add_f32 v[16:17], v[36:37], v[16:17]
	v_pk_add_f32 v[18:19], v[236:237], v[18:19]
	v_mov_b32_e32 v145, v113
	v_mov_b32_e32 v113, v43
	ds_write2_b64 v65, v[16:17], v[18:19] offset0:12 offset1:13
	v_pk_add_f32 v[16:17], v[44:45], v[144:145]
	v_mov_b32_e32 v149, v117
	v_pk_add_f32 v[18:19], v[44:45], v[112:113]
	v_mov_b32_e32 v117, v49
	;; [unrolled: 2-line block ×14, first 2 shown]
	v_pk_add_f32 v[16:17], v[194:195], v[16:17]
	v_pk_add_f32 v[18:19], v[140:141], v[18:19]
	v_accvgpr_read_b32 v55, a3
	ds_write2_b64 v65, v[16:17], v[18:19] offset0:14 offset1:15
	v_pk_add_f32 v[16:17], v[44:45], v[54:55]
	v_accvgpr_read_b32 v51, a5
	v_pk_add_f32 v[16:17], v[50:51], v[16:17]
	v_accvgpr_read_b32 v43, a7
	;; [unrolled: 2-line block ×7, first 2 shown]
	v_accvgpr_read_b32 v176, a1
	v_pk_add_f32 v[16:17], v[72:73], v[16:17]
	ds_write_b64 v65, v[16:17] offset:128
.LBB0_13:
	s_or_b64 exec, exec, s[0:1]
	v_add_u32_e32 v18, 0x800, v64
	v_add_u32_e32 v17, 0x1400, v64
	;; [unrolled: 1-line block ×3, first 2 shown]
	s_waitcnt lgkmcnt(0)
	s_barrier
	ds_read2_b64 v[36:39], v64 offset1:170
	ds_read2_b64 v[40:43], v18 offset0:84 offset1:254
	ds_read2_b64 v[44:47], v17 offset0:40 offset1:210
	v_add_u32_e32 v19, 0x1e00, v64
	ds_read2_b64 v[52:55], v16 offset0:80 offset1:250
	ds_read2_b64 v[48:51], v19 offset0:60 offset1:230
	s_waitcnt lgkmcnt(4)
	v_pk_mul_f32 v[12:13], v[12:13], v[38:39]
	s_waitcnt lgkmcnt(3)
	v_pk_mul_f32 v[14:15], v[14:15], v[40:41]
	;; [unrolled: 2-line block ×4, first 2 shown]
	v_pk_fma_f32 v[56:57], v[108:109], v[38:39], v[12:13] op_sel:[0,0,1] op_sel_hi:[1,1,0]
	v_pk_fma_f32 v[12:13], v[108:109], v[38:39], v[12:13] op_sel:[0,0,1] op_sel_hi:[1,1,0] neg_lo:[0,0,1] neg_hi:[0,0,1]
	v_pk_fma_f32 v[38:39], v[106:107], v[40:41], v[14:15] op_sel:[0,0,1] op_sel_hi:[1,1,0]
	v_pk_fma_f32 v[14:15], v[106:107], v[40:41], v[14:15] op_sel:[0,0,1] op_sel_hi:[1,1,0] neg_lo:[0,0,1] neg_hi:[0,0,1]
	v_pk_mul_f32 v[8:9], v[8:9], v[42:43]
	v_pk_fma_f32 v[40:41], v[102:103], v[44:45], v[10:11] op_sel:[0,0,1] op_sel_hi:[1,1,0]
	v_pk_fma_f32 v[10:11], v[102:103], v[44:45], v[10:11] op_sel:[0,0,1] op_sel_hi:[1,1,0] neg_lo:[0,0,1] neg_hi:[0,0,1]
	s_waitcnt lgkmcnt(0)
	v_pk_mul_f32 v[6:7], v[6:7], v[48:49]
	v_pk_fma_f32 v[44:45], v[94:95], v[52:53], v[2:3] op_sel:[0,0,1] op_sel_hi:[1,1,0]
	v_pk_fma_f32 v[2:3], v[94:95], v[52:53], v[2:3] op_sel:[0,0,1] op_sel_hi:[1,1,0] neg_lo:[0,0,1] neg_hi:[0,0,1]
	v_mov_b32_e32 v39, v15
	v_pk_fma_f32 v[14:15], v[104:105], v[42:43], v[8:9] op_sel:[0,0,1] op_sel_hi:[1,1,0]
	v_pk_fma_f32 v[8:9], v[104:105], v[42:43], v[8:9] op_sel:[0,0,1] op_sel_hi:[1,1,0] neg_lo:[0,0,1] neg_hi:[0,0,1]
	v_pk_mul_f32 v[4:5], v[4:5], v[46:47]
	v_pk_fma_f32 v[42:43], v[98:99], v[48:49], v[6:7] op_sel:[0,0,1] op_sel_hi:[1,1,0]
	v_pk_fma_f32 v[6:7], v[98:99], v[48:49], v[6:7] op_sel:[0,0,1] op_sel_hi:[1,1,0] neg_lo:[0,0,1] neg_hi:[0,0,1]
	v_pk_mul_f32 v[0:1], v[0:1], v[50:51]
	v_mov_b32_e32 v45, v3
	v_pk_mul_f32 v[2:3], v[68:69], v[54:55]
	v_mov_b32_e32 v41, v11
	v_pk_fma_f32 v[10:11], v[100:101], v[46:47], v[4:5] op_sel:[0,0,1] op_sel_hi:[1,1,0]
	v_pk_fma_f32 v[4:5], v[100:101], v[46:47], v[4:5] op_sel:[0,0,1] op_sel_hi:[1,1,0] neg_lo:[0,0,1] neg_hi:[0,0,1]
	v_mov_b32_e32 v43, v7
	v_pk_fma_f32 v[6:7], v[96:97], v[50:51], v[0:1] op_sel:[0,0,1] op_sel_hi:[1,1,0]
	v_pk_fma_f32 v[46:47], v[92:93], v[54:55], v[2:3] op_sel:[0,0,1] op_sel_hi:[1,1,0]
	v_mov_b32_e32 v58, v14
	v_mov_b32_e32 v59, v46
	;; [unrolled: 1-line block ×4, first 2 shown]
	v_pk_fma_f32 v[0:1], v[96:97], v[50:51], v[0:1] op_sel:[0,0,1] op_sel_hi:[1,1,0] neg_lo:[0,0,1] neg_hi:[0,0,1]
	v_pk_add_f32 v[62:63], v[58:59], v[60:61] neg_lo:[0,1] neg_hi:[0,1]
	v_mov_b32_e32 v11, v5
	v_mov_b32_e32 v7, v1
	v_pk_fma_f32 v[2:3], v[92:93], v[54:55], v[2:3] op_sel:[0,0,1] op_sel_hi:[1,1,0] neg_lo:[0,0,1] neg_hi:[0,0,1]
	v_mov_b32_e32 v0, v63
	v_mov_b32_e32 v15, v9
	;; [unrolled: 1-line block ×3, first 2 shown]
	v_pk_add_f32 v[50:51], v[10:11], v[6:7]
	v_pk_add_f32 v[54:55], v[10:11], v[6:7] neg_lo:[0,1] neg_hi:[0,1]
	v_pk_add_f32 v[62:63], v[62:63], v[0:1]
	s_mov_b32 s0, 0x3e9e377a
	v_fma_f32 v2, -0.5, v50, v56
	v_pk_add_f32 v[52:53], v[14:15], v[46:47] neg_lo:[0,1] neg_hi:[0,1]
	v_mov_b32_e32 v63, v55
	s_mov_b32 s1, 0x3f167918
	v_fmamk_f32 v4, v53, 0xbf737871, v2
	v_pk_mul_f32 v[62:63], v[62:63], s[0:1]
	v_fmac_f32_e32 v2, 0x3f737871, v53
	v_sub_f32_e32 v0, v4, v63
	v_add_f32_e32 v4, v62, v0
	v_add_f32_e32 v0, v63, v2
	v_pk_add_f32 v[58:59], v[60:61], v[58:59] neg_lo:[0,1] neg_hi:[0,1]
	v_add_f32_e32 v8, v62, v0
	v_mov_b32_e32 v0, v59
	v_pk_add_f32 v[62:63], v[14:15], v[46:47]
	v_mov_b32_e32 v2, v56
	v_pk_add_f32 v[58:59], v[58:59], v[0:1]
	v_fmac_f32_e32 v2, -0.5, v62
	v_mov_b32_e32 v59, v53
	v_fmamk_f32 v12, v55, 0x3f737871, v2
	v_pk_mul_f32 v[58:59], v[58:59], s[0:1]
	v_mov_b32_e32 v57, v13
	v_sub_f32_e32 v0, v12, v59
	v_fmac_f32_e32 v2, 0xbf737871, v55
	v_add_f32_e32 v12, v58, v0
	v_add_f32_e32 v0, v59, v2
	v_pk_add_f32 v[14:15], v[56:57], v[14:15]
	v_add_f32_e32 v50, v58, v0
	v_pk_add_f32 v[10:11], v[14:15], v[10:11]
	v_mov_b32_e32 v2, v9
	v_mov_b32_e32 v0, v5
	v_pk_add_f32 v[6:7], v[10:11], v[6:7]
	v_pk_add_f32 v[10:11], v[2:3], v[0:1] neg_lo:[0,1] neg_hi:[0,1]
	v_fma_f32 v15, -0.5, v51, v13
	v_mov_b32_e32 v14, v11
	v_pk_add_f32 v[10:11], v[10:11], v[14:15]
	v_pk_add_f32 v[6:7], v[6:7], v[46:47]
	v_mov_b32_e32 v11, v54
	v_fmamk_f32 v46, v52, 0x3f737871, v15
	v_pk_mul_f32 v[10:11], v[10:11], s[0:1]
	v_pk_add_f32 v[0:1], v[0:1], v[2:3] neg_lo:[0,1] neg_hi:[0,1]
	v_add_f32_e32 v5, v11, v46
	v_fmac_f32_e32 v15, 0xbf737871, v52
	v_mov_b32_e32 v2, v1
	v_add_f32_e32 v14, v10, v5
	v_sub_f32_e32 v5, v15, v11
	v_fmac_f32_e32 v13, -0.5, v63
	v_pk_add_f32 v[0:1], v[0:1], v[2:3]
	s_mov_b32 s10, 0x3f737871
	v_add_f32_e32 v10, v10, v5
	v_fmamk_f32 v5, v54, 0xbf737871, v13
	v_mov_b32_e32 v1, v52
	v_fmac_f32_e32 v13, 0x3f737871, v54
	v_pk_add_f32 v[52:53], v[40:41], v[42:43]
	v_pk_add_f32 v[54:55], v[38:39], v[44:45] neg_lo:[0,1] neg_hi:[0,1]
	v_pk_fma_f32 v[52:53], v[52:53], 0.5, v[36:37] op_sel_hi:[1,0,1] neg_lo:[1,0,0] neg_hi:[1,0,0]
	v_pk_mul_f32 v[56:57], v[54:55], s[10:11] op_sel_hi:[1,0]
	v_pk_add_f32 v[58:59], v[40:41], v[42:43] neg_lo:[0,1] neg_hi:[0,1]
	s_mov_b32 s16, s1
	v_pk_add_f32 v[62:63], v[38:39], v[40:41] neg_lo:[0,1] neg_hi:[0,1]
	v_pk_add_f32 v[66:67], v[44:45], v[42:43] neg_lo:[0,1] neg_hi:[0,1]
	s_mov_b32 s18, 0x3f4f1bbd
	v_pk_add_f32 v[48:49], v[36:37], v[38:39]
	v_pk_mul_f32 v[60:61], v[58:59], s[16:17] op_sel_hi:[1,0]
	v_pk_add_f32 v[62:63], v[62:63], v[66:67]
	v_pk_add_f32 v[66:67], v[52:53], v[56:57] op_sel:[0,1] op_sel_hi:[1,0] neg_lo:[0,1] neg_hi:[0,1]
	v_pk_add_f32 v[52:53], v[52:53], v[56:57] op_sel:[0,1] op_sel_hi:[1,0]
	s_mov_b32 s14, s1
	s_mov_b32 s15, s18
	v_pk_add_f32 v[48:49], v[48:49], v[40:41]
	v_pk_mul_f32 v[0:1], v[0:1], s[0:1]
	v_pk_add_f32 v[52:53], v[52:53], v[60:61] op_sel:[0,1] op_sel_hi:[1,0]
	v_pk_add_f32 v[56:57], v[66:67], v[60:61] op_sel:[0,1] op_sel_hi:[1,0] neg_lo:[0,1] neg_hi:[0,1]
	s_mov_b32 s19, s1
	v_pk_mul_f32 v[14:15], v[14:15], s[14:15] op_sel_hi:[0,1]
	v_pk_add_f32 v[48:49], v[48:49], v[42:43]
	v_add_f32_e32 v2, v1, v5
	v_mov_b32_e32 v60, v56
	v_mov_b32_e32 v61, v53
	v_pk_fma_f32 v[66:67], v[4:5], s[18:19], v[14:15] neg_lo:[0,0,1] neg_hi:[0,0,1]
	v_pk_fma_f32 v[4:5], v[4:5], s[18:19], v[14:15] op_sel_hi:[0,1,1]
	v_pk_add_f32 v[48:49], v[48:49], v[44:45]
	v_pk_fma_f32 v[60:61], v[62:63], s[0:1], v[60:61] op_sel_hi:[1,0,1]
	v_mov_b32_e32 v67, v5
	v_pk_add_f32 v[46:47], v[48:49], v[6:7]
	v_pk_add_f32 v[4:5], v[60:61], v[66:67]
	v_add_f32_e32 v2, v0, v2
	s_barrier
	ds_write2_b64 v135, v[46:47], v[4:5] offset1:17
	v_pk_add_f32 v[4:5], v[38:39], v[44:45]
	s_mov_b32 s11, s0
	v_pk_fma_f32 v[4:5], v[4:5], 0.5, v[36:37] op_sel_hi:[1,0,1] neg_lo:[1,0,0] neg_hi:[1,0,0]
	v_pk_add_f32 v[14:15], v[40:41], v[38:39] neg_lo:[0,1] neg_hi:[0,1]
	v_pk_add_f32 v[36:37], v[42:43], v[44:45] neg_lo:[0,1] neg_hi:[0,1]
	s_mov_b32 s20, s0
	s_mov_b32 s21, s10
	v_pk_mul_f32 v[2:3], v[2:3], s[10:11] op_sel_hi:[0,1]
	v_pk_add_f32 v[14:15], v[14:15], v[36:37]
	v_pk_fma_f32 v[36:37], v[12:13], s[20:21], v[2:3] neg_lo:[0,0,1] neg_hi:[0,0,1]
	v_pk_fma_f32 v[2:3], v[12:13], s[20:21], v[2:3] op_sel_hi:[0,1,1]
	v_mov_b32_e32 v37, v3
	v_pk_mul_f32 v[2:3], v[58:59], s[10:11] op_sel_hi:[1,0]
	v_sub_f32_e32 v1, v13, v1
	v_pk_mul_f32 v[12:13], v[54:55], s[16:17] op_sel_hi:[1,0]
	v_pk_add_f32 v[38:39], v[4:5], v[2:3] op_sel:[0,1] op_sel_hi:[1,0]
	v_pk_add_f32 v[2:3], v[4:5], v[2:3] op_sel:[0,1] op_sel_hi:[1,0] neg_lo:[0,1] neg_hi:[0,1]
	v_add_f32_e32 v0, v0, v1
	v_pk_add_f32 v[2:3], v[2:3], v[12:13] op_sel:[0,1] op_sel_hi:[1,0]
	v_pk_add_f32 v[4:5], v[38:39], v[12:13] op_sel:[0,1] op_sel_hi:[1,0] neg_lo:[0,1] neg_hi:[0,1]
	v_mov_b32_e32 v13, v3
	v_mov_b32_e32 v12, v4
	s_mov_b32 s22, 0xbe9e377a
	s_mov_b32 s23, s10
	v_pk_mul_f32 v[0:1], v[0:1], s[10:11] op_sel_hi:[0,1]
	v_mov_b32_e32 v3, v5
	v_pk_fma_f32 v[12:13], v[14:15], s[0:1], v[12:13] op_sel_hi:[1,0,1]
	v_pk_fma_f32 v[0:1], v[50:51], s[22:23], v[0:1] op_sel_hi:[0,1,1] neg_lo:[0,0,1] neg_hi:[0,0,1]
	v_pk_fma_f32 v[2:3], v[14:15], s[0:1], v[2:3] op_sel_hi:[1,0,1]
	v_pk_add_f32 v[38:39], v[12:13], v[36:37]
	v_pk_add_f32 v[4:5], v[2:3], v[0:1]
	ds_write2_b64 v135, v[38:39], v[4:5] offset0:34 offset1:51
	s_mov_b32 s24, 0xbf4f1bbd
	s_mov_b32 s25, s1
	v_pk_mul_f32 v[4:5], v[10:11], s[14:15] op_sel_hi:[0,1]
	v_mov_b32_e32 v53, v57
	v_pk_fma_f32 v[4:5], v[8:9], s[24:25], v[4:5] op_sel_hi:[0,1,1] neg_lo:[0,0,1] neg_hi:[0,0,1]
	v_pk_fma_f32 v[8:9], v[62:63], s[0:1], v[52:53] op_sel_hi:[1,0,1]
	v_pk_add_f32 v[6:7], v[48:49], v[6:7] neg_lo:[0,1] neg_hi:[0,1]
	v_pk_add_f32 v[10:11], v[8:9], v[4:5]
	ds_write2_b64 v135, v[10:11], v[6:7] offset0:68 offset1:85
	v_pk_add_f32 v[6:7], v[60:61], v[66:67] neg_lo:[0,1] neg_hi:[0,1]
	v_pk_add_f32 v[10:11], v[12:13], v[36:37] neg_lo:[0,1] neg_hi:[0,1]
	;; [unrolled: 1-line block ×4, first 2 shown]
	ds_write2_b64 v135, v[6:7], v[10:11] offset0:102 offset1:119
	ds_write2_b64 v135, v[0:1], v[2:3] offset0:136 offset1:153
	s_waitcnt lgkmcnt(0)
	s_barrier
	ds_read2_b64 v[0:3], v64 offset1:170
	ds_read2_b64 v[4:7], v18 offset0:84 offset1:254
	ds_read2_b64 v[8:11], v17 offset0:40 offset1:210
	;; [unrolled: 1-line block ×4, first 2 shown]
	s_waitcnt lgkmcnt(4)
	v_pk_mul_f32 v[32:33], v[32:33], v[2:3]
	s_nop 0
	v_pk_fma_f32 v[40:41], v[90:91], v[2:3], v[32:33] op_sel:[0,0,1] op_sel_hi:[1,1,0]
	v_pk_fma_f32 v[2:3], v[90:91], v[2:3], v[32:33] op_sel:[0,0,1] op_sel_hi:[1,1,0] neg_lo:[0,0,1] neg_hi:[0,0,1]
	s_waitcnt lgkmcnt(3)
	v_pk_mul_f32 v[32:33], v[34:35], v[4:5]
	v_mov_b32_e32 v41, v3
	v_pk_fma_f32 v[34:35], v[88:89], v[4:5], v[32:33] op_sel:[0,0,1] op_sel_hi:[1,1,0]
	v_pk_fma_f32 v[4:5], v[88:89], v[4:5], v[32:33] op_sel:[0,0,1] op_sel_hi:[1,1,0] neg_lo:[0,0,1] neg_hi:[0,0,1]
	s_nop 0
	v_mov_b32_e32 v35, v5
	v_pk_mul_f32 v[4:5], v[28:29], v[6:7]
	s_nop 0
	v_pk_fma_f32 v[28:29], v[86:87], v[6:7], v[4:5] op_sel:[0,0,1] op_sel_hi:[1,1,0]
	v_pk_fma_f32 v[4:5], v[86:87], v[6:7], v[4:5] op_sel:[0,0,1] op_sel_hi:[1,1,0] neg_lo:[0,0,1] neg_hi:[0,0,1]
	s_waitcnt lgkmcnt(2)
	v_pk_mul_f32 v[6:7], v[30:31], v[8:9]
	v_mov_b32_e32 v42, v28
	v_pk_fma_f32 v[30:31], v[84:85], v[8:9], v[6:7] op_sel:[0,0,1] op_sel_hi:[1,1,0]
	v_pk_fma_f32 v[6:7], v[84:85], v[8:9], v[6:7] op_sel:[0,0,1] op_sel_hi:[1,1,0] neg_lo:[0,0,1] neg_hi:[0,0,1]
	v_mov_b32_e32 v29, v5
	v_mov_b32_e32 v31, v7
	v_pk_mul_f32 v[6:7], v[24:25], v[10:11]
	s_nop 0
	v_pk_fma_f32 v[8:9], v[82:83], v[10:11], v[6:7] op_sel:[0,0,1] op_sel_hi:[1,1,0]
	v_pk_fma_f32 v[6:7], v[82:83], v[10:11], v[6:7] op_sel:[0,0,1] op_sel_hi:[1,1,0] neg_lo:[0,0,1] neg_hi:[0,0,1]
	s_waitcnt lgkmcnt(1)
	v_pk_mul_f32 v[10:11], v[26:27], v[12:13]
	v_mov_b32_e32 v44, v8
	v_pk_fma_f32 v[24:25], v[80:81], v[12:13], v[10:11] op_sel:[0,0,1] op_sel_hi:[1,1,0]
	v_pk_fma_f32 v[10:11], v[80:81], v[12:13], v[10:11] op_sel:[0,0,1] op_sel_hi:[1,1,0] neg_lo:[0,0,1] neg_hi:[0,0,1]
	v_mov_b32_e32 v9, v7
	v_mov_b32_e32 v25, v11
	v_pk_mul_f32 v[10:11], v[20:21], v[14:15]
	v_pk_add_f32 v[26:27], v[0:1], v[34:35]
	v_pk_fma_f32 v[12:13], v[78:79], v[14:15], v[10:11] op_sel:[0,0,1] op_sel_hi:[1,1,0]
	v_pk_fma_f32 v[10:11], v[78:79], v[14:15], v[10:11] op_sel:[0,0,1] op_sel_hi:[1,1,0] neg_lo:[0,0,1] neg_hi:[0,0,1]
	s_waitcnt lgkmcnt(0)
	v_pk_mul_f32 v[14:15], v[22:23], v[36:37]
	v_mov_b32_e32 v45, v12
	v_pk_fma_f32 v[20:21], v[154:155], v[36:37], v[14:15] op_sel:[0,0,1] op_sel_hi:[1,1,0]
	v_pk_fma_f32 v[14:15], v[154:155], v[36:37], v[14:15] op_sel:[0,0,1] op_sel_hi:[1,1,0] neg_lo:[0,0,1] neg_hi:[0,0,1]
	v_mov_b32_e32 v13, v11
	v_mov_b32_e32 v21, v15
	v_pk_mul_f32 v[14:15], v[70:71], v[38:39]
	v_pk_add_f32 v[32:33], v[8:9], v[12:13]
	v_pk_fma_f32 v[22:23], v[74:75], v[38:39], v[14:15] op_sel:[0,0,1] op_sel_hi:[1,1,0]
	v_pk_fma_f32 v[14:15], v[74:75], v[38:39], v[14:15] op_sel:[0,0,1] op_sel_hi:[1,1,0] neg_lo:[0,0,1] neg_hi:[0,0,1]
	v_mov_b32_e32 v43, v22
	v_pk_add_f32 v[46:47], v[42:43], v[44:45] neg_lo:[0,1] neg_hi:[0,1]
	v_mov_b32_e32 v23, v15
	v_mov_b32_e32 v2, v47
	v_pk_add_f32 v[38:39], v[8:9], v[12:13] neg_lo:[0,1] neg_hi:[0,1]
	v_pk_add_f32 v[46:47], v[46:47], v[2:3]
	v_fma_f32 v4, -0.5, v32, v40
	v_pk_add_f32 v[36:37], v[28:29], v[22:23] neg_lo:[0,1] neg_hi:[0,1]
	v_mov_b32_e32 v47, v39
	v_fmamk_f32 v6, v37, 0xbf737871, v4
	v_pk_mul_f32 v[46:47], v[46:47], s[0:1]
	v_fmac_f32_e32 v4, 0x3f737871, v37
	v_pk_add_f32 v[42:43], v[44:45], v[42:43] neg_lo:[0,1] neg_hi:[0,1]
	v_sub_f32_e32 v2, v6, v47
	v_add_f32_e32 v4, v47, v4
	v_mov_b32_e32 v6, v43
	v_add_f32_e32 v2, v46, v2
	v_add_f32_e32 v4, v46, v4
	v_pk_add_f32 v[46:47], v[28:29], v[22:23]
	v_mov_b32_e32 v10, v40
	v_pk_add_f32 v[42:43], v[42:43], v[6:7]
	v_fmac_f32_e32 v10, -0.5, v46
	v_mov_b32_e32 v43, v37
	v_fmamk_f32 v14, v39, 0x3f737871, v10
	v_pk_mul_f32 v[42:43], v[42:43], s[0:1]
	v_fmac_f32_e32 v10, 0xbf737871, v39
	v_add_f32_e32 v10, v43, v10
	v_pk_add_f32 v[28:29], v[40:41], v[28:29]
	v_sub_f32_e32 v6, v14, v43
	v_add_f32_e32 v32, v42, v10
	v_pk_add_f32 v[8:9], v[28:29], v[8:9]
	v_mov_b32_e32 v14, v5
	v_mov_b32_e32 v10, v7
	v_pk_add_f32 v[8:9], v[8:9], v[12:13]
	v_pk_add_f32 v[12:13], v[14:15], v[10:11] neg_lo:[0,1] neg_hi:[0,1]
	v_pk_add_f32 v[8:9], v[8:9], v[22:23]
	v_fma_f32 v23, -0.5, v33, v3
	v_mov_b32_e32 v22, v13
	v_pk_add_f32 v[12:13], v[12:13], v[22:23]
	v_fmamk_f32 v28, v36, 0x3f737871, v23
	v_mov_b32_e32 v13, v38
	v_pk_mul_f32 v[12:13], v[12:13], s[0:1]
	v_pk_add_f32 v[10:11], v[10:11], v[14:15] neg_lo:[0,1] neg_hi:[0,1]
	v_add_f32_e32 v5, v13, v28
	v_fmac_f32_e32 v23, 0xbf737871, v36
	v_mov_b32_e32 v14, v11
	v_add_f32_e32 v22, v12, v5
	v_sub_f32_e32 v5, v23, v13
	v_fmac_f32_e32 v3, -0.5, v47
	v_pk_add_f32 v[10:11], v[10:11], v[14:15]
	v_add_f32_e32 v12, v12, v5
	v_fmamk_f32 v5, v38, 0xbf737871, v3
	v_mov_b32_e32 v11, v36
	v_fmac_f32_e32 v3, 0x3f737871, v38
	v_pk_add_f32 v[36:37], v[30:31], v[24:25]
	v_pk_add_f32 v[38:39], v[34:35], v[20:21] neg_lo:[0,1] neg_hi:[0,1]
	v_add_f32_e32 v6, v42, v6
	v_pk_fma_f32 v[36:37], v[36:37], 0.5, v[0:1] op_sel_hi:[1,0,1] neg_lo:[1,0,0] neg_hi:[1,0,0]
	v_pk_mul_f32 v[40:41], v[38:39], s[10:11] op_sel_hi:[1,0]
	v_pk_add_f32 v[42:43], v[30:31], v[24:25] neg_lo:[0,1] neg_hi:[0,1]
	v_pk_add_f32 v[46:47], v[34:35], v[30:31] neg_lo:[0,1] neg_hi:[0,1]
	;; [unrolled: 1-line block ×3, first 2 shown]
	v_pk_mul_f32 v[10:11], v[10:11], s[0:1]
	v_pk_mul_f32 v[44:45], v[42:43], s[16:17] op_sel_hi:[1,0]
	v_pk_add_f32 v[46:47], v[46:47], v[48:49]
	v_pk_add_f32 v[48:49], v[36:37], v[40:41] op_sel:[0,1] op_sel_hi:[1,0] neg_lo:[0,1] neg_hi:[0,1]
	v_pk_add_f32 v[36:37], v[36:37], v[40:41] op_sel:[0,1] op_sel_hi:[1,0]
	v_pk_add_f32 v[26:27], v[26:27], v[30:31]
	v_add_f32_e32 v5, v11, v5
	v_sub_f32_e32 v3, v3, v11
	v_pk_add_f32 v[36:37], v[36:37], v[44:45] op_sel:[0,1] op_sel_hi:[1,0]
	v_pk_add_f32 v[40:41], v[48:49], v[44:45] op_sel:[0,1] op_sel_hi:[1,0] neg_lo:[0,1] neg_hi:[0,1]
	v_pk_mul_f32 v[22:23], v[22:23], s[14:15] op_sel_hi:[0,1]
	v_pk_add_f32 v[26:27], v[26:27], v[24:25]
	v_add_f32_e32 v14, v10, v5
	v_add_f32_e32 v10, v10, v3
	v_mov_b32_e32 v44, v40
	v_mov_b32_e32 v45, v37
	v_pk_fma_f32 v[48:49], v[2:3], s[18:19], v[22:23] neg_lo:[0,0,1] neg_hi:[0,0,1]
	v_pk_fma_f32 v[2:3], v[2:3], s[18:19], v[22:23] op_sel_hi:[0,1,1]
	v_pk_add_f32 v[26:27], v[26:27], v[20:21]
	v_pk_fma_f32 v[44:45], v[46:47], s[0:1], v[44:45] op_sel_hi:[1,0,1]
	v_mov_b32_e32 v49, v3
	v_pk_add_f32 v[28:29], v[26:27], v[8:9]
	v_pk_add_f32 v[2:3], v[44:45], v[48:49]
	ds_write2_b64 v64, v[28:29], v[2:3] offset1:170
	v_pk_add_f32 v[2:3], v[34:35], v[20:21]
	v_pk_add_f32 v[20:21], v[24:25], v[20:21] neg_lo:[0,1] neg_hi:[0,1]
	v_pk_fma_f32 v[0:1], v[2:3], 0.5, v[0:1] op_sel_hi:[1,0,1] neg_lo:[1,0,0] neg_hi:[1,0,0]
	v_pk_add_f32 v[2:3], v[30:31], v[34:35] neg_lo:[0,1] neg_hi:[0,1]
	v_pk_mul_f32 v[14:15], v[14:15], s[10:11] op_sel_hi:[0,1]
	v_pk_add_f32 v[2:3], v[2:3], v[20:21]
	v_pk_fma_f32 v[20:21], v[6:7], s[20:21], v[14:15] neg_lo:[0,0,1] neg_hi:[0,0,1]
	v_pk_fma_f32 v[6:7], v[6:7], s[20:21], v[14:15] op_sel_hi:[0,1,1]
	v_mov_b32_e32 v21, v7
	v_pk_mul_f32 v[6:7], v[42:43], s[10:11] op_sel_hi:[1,0]
	v_pk_mul_f32 v[14:15], v[38:39], s[16:17] op_sel_hi:[1,0]
	v_pk_add_f32 v[22:23], v[0:1], v[6:7] op_sel:[0,1] op_sel_hi:[1,0]
	v_pk_add_f32 v[0:1], v[0:1], v[6:7] op_sel:[0,1] op_sel_hi:[1,0] neg_lo:[0,1] neg_hi:[0,1]
	v_pk_add_f32 v[6:7], v[22:23], v[14:15] op_sel:[0,1] op_sel_hi:[1,0] neg_lo:[0,1] neg_hi:[0,1]
	v_pk_add_f32 v[0:1], v[0:1], v[14:15] op_sel:[0,1] op_sel_hi:[1,0]
	v_mov_b32_e32 v14, v6
	v_mov_b32_e32 v15, v1
	v_pk_mul_f32 v[10:11], v[10:11], s[10:11] op_sel_hi:[0,1]
	v_mov_b32_e32 v1, v7
	v_pk_fma_f32 v[14:15], v[2:3], s[0:1], v[14:15] op_sel_hi:[1,0,1]
	v_pk_fma_f32 v[10:11], v[32:33], s[22:23], v[10:11] op_sel_hi:[0,1,1] neg_lo:[0,0,1] neg_hi:[0,0,1]
	v_pk_fma_f32 v[0:1], v[2:3], s[0:1], v[0:1] op_sel_hi:[1,0,1]
	v_pk_add_f32 v[22:23], v[14:15], v[20:21]
	v_pk_add_f32 v[2:3], v[0:1], v[10:11]
	ds_write2_b64 v18, v[22:23], v[2:3] offset0:84 offset1:254
	v_pk_mul_f32 v[2:3], v[12:13], s[14:15] op_sel_hi:[0,1]
	v_mov_b32_e32 v37, v41
	v_pk_fma_f32 v[2:3], v[4:5], s[24:25], v[2:3] op_sel_hi:[0,1,1] neg_lo:[0,0,1] neg_hi:[0,0,1]
	v_pk_fma_f32 v[4:5], v[46:47], s[0:1], v[36:37] op_sel_hi:[1,0,1]
	v_pk_add_f32 v[8:9], v[26:27], v[8:9] neg_lo:[0,1] neg_hi:[0,1]
	v_pk_add_f32 v[6:7], v[4:5], v[2:3]
	ds_write2_b64 v17, v[6:7], v[8:9] offset0:40 offset1:210
	v_pk_add_f32 v[6:7], v[44:45], v[48:49] neg_lo:[0,1] neg_hi:[0,1]
	v_pk_add_f32 v[8:9], v[14:15], v[20:21] neg_lo:[0,1] neg_hi:[0,1]
	;; [unrolled: 1-line block ×4, first 2 shown]
	ds_write2_b64 v19, v[6:7], v[8:9] offset0:60 offset1:230
	ds_write2_b64 v16, v[0:1], v[2:3] offset0:80 offset1:250
	s_waitcnt lgkmcnt(0)
	s_barrier
	s_and_b64 exec, exec, s[2:3]
	s_cbranch_execz .LBB0_15
; %bb.14:
	global_load_dwordx2 v[0:1], v64, s[8:9]
	ds_read_b64 v[2:3], v64
	v_accvgpr_read_b32 v14, a0
	v_mad_u64_u32 v[6:7], s[0:1], s6, v14, 0
	v_mov_b32_e32 v10, v7
	v_mad_u64_u32 v[10:11], s[2:3], s7, v14, v[10:11]
	v_mov_b32_e32 v4, s12
	v_mov_b32_e32 v5, s13
	;; [unrolled: 1-line block ×3, first 2 shown]
	v_mad_u64_u32 v[8:9], s[2:3], s4, v176, 0
	v_lshl_add_u64 v[4:5], v[6:7], 3, v[4:5]
	s_mov_b32 s0, 0xace01346
	v_mov_b32_e32 v12, v9
	s_mov_b32 s1, 0x3f434679
	v_mad_u64_u32 v[12:13], s[2:3], s5, v176, v[12:13]
	v_mov_b32_e32 v9, v12
	v_lshl_add_u64 v[4:5], v[8:9], 3, v[4:5]
	v_mov_b32_e32 v12, 0x320
	s_mul_i32 s2, s5, 0x320
	v_mov_b32_e32 v65, 0
	s_movk_i32 s3, 0x1000
	s_waitcnt vmcnt(0) lgkmcnt(0)
	v_mul_f32_e32 v6, v3, v1
	v_mul_f32_e32 v1, v2, v1
	v_fmac_f32_e32 v6, v2, v0
	v_fma_f32 v2, v0, v3, -v1
	v_cvt_f64_f32_e32 v[0:1], v6
	v_cvt_f64_f32_e32 v[2:3], v2
	v_mul_f64 v[0:1], v[0:1], s[0:1]
	v_mul_f64 v[2:3], v[2:3], s[0:1]
	v_cvt_f32_f64_e32 v0, v[0:1]
	v_cvt_f32_f64_e32 v1, v[2:3]
	global_store_dwordx2 v[4:5], v[0:1], off
	global_load_dwordx2 v[6:7], v64, s[8:9] offset:800
	ds_read2_b64 v[0:3], v64 offset0:100 offset1:200
	v_mad_u64_u32 v[4:5], s[6:7], s4, v12, v[4:5]
	v_add_u32_e32 v5, s2, v5
	s_waitcnt vmcnt(0) lgkmcnt(0)
	v_mul_f32_e32 v8, v1, v7
	v_mul_f32_e32 v7, v0, v7
	v_fmac_f32_e32 v8, v0, v6
	v_fma_f32 v6, v6, v1, -v7
	v_cvt_f64_f32_e32 v[0:1], v8
	v_cvt_f64_f32_e32 v[6:7], v6
	v_mul_f64 v[0:1], v[0:1], s[0:1]
	v_mul_f64 v[6:7], v[6:7], s[0:1]
	v_cvt_f32_f64_e32 v0, v[0:1]
	v_cvt_f32_f64_e32 v1, v[6:7]
	global_store_dwordx2 v[4:5], v[0:1], off
	global_load_dwordx2 v[0:1], v64, s[8:9] offset:1600
	v_mad_u64_u32 v[4:5], s[6:7], s4, v12, v[4:5]
	v_add_u32_e32 v5, s2, v5
	s_waitcnt vmcnt(0)
	v_mul_f32_e32 v6, v3, v1
	v_mul_f32_e32 v1, v2, v1
	v_fmac_f32_e32 v6, v2, v0
	v_fma_f32 v2, v0, v3, -v1
	v_cvt_f64_f32_e32 v[0:1], v6
	v_cvt_f64_f32_e32 v[2:3], v2
	v_mul_f64 v[0:1], v[0:1], s[0:1]
	v_mul_f64 v[2:3], v[2:3], s[0:1]
	v_cvt_f32_f64_e32 v0, v[0:1]
	v_cvt_f32_f64_e32 v1, v[2:3]
	global_store_dwordx2 v[4:5], v[0:1], off
	global_load_dwordx2 v[6:7], v64, s[8:9] offset:2400
	ds_read2_b64 v[0:3], v18 offset0:44 offset1:144
	v_mad_u64_u32 v[4:5], s[6:7], s4, v12, v[4:5]
	v_add_u32_e32 v5, s2, v5
	s_waitcnt vmcnt(0) lgkmcnt(0)
	v_mul_f32_e32 v8, v1, v7
	v_mul_f32_e32 v7, v0, v7
	v_fmac_f32_e32 v8, v0, v6
	v_fma_f32 v6, v6, v1, -v7
	v_cvt_f64_f32_e32 v[0:1], v8
	v_cvt_f64_f32_e32 v[6:7], v6
	v_mul_f64 v[0:1], v[0:1], s[0:1]
	v_mul_f64 v[6:7], v[6:7], s[0:1]
	v_cvt_f32_f64_e32 v0, v[0:1]
	v_cvt_f32_f64_e32 v1, v[6:7]
	global_store_dwordx2 v[4:5], v[0:1], off
	global_load_dwordx2 v[0:1], v64, s[8:9] offset:3200
	v_mad_u64_u32 v[6:7], s[6:7], s4, v12, v[4:5]
	v_add_u32_e32 v7, s2, v7
	s_waitcnt vmcnt(0)
	v_mul_f32_e32 v4, v3, v1
	v_mul_f32_e32 v1, v2, v1
	v_fmac_f32_e32 v4, v2, v0
	v_fma_f32 v2, v0, v3, -v1
	v_cvt_f64_f32_e32 v[0:1], v4
	v_cvt_f64_f32_e32 v[2:3], v2
	v_mul_f64 v[0:1], v[0:1], s[0:1]
	v_mul_f64 v[2:3], v[2:3], s[0:1]
	v_cvt_f32_f64_e32 v0, v[0:1]
	v_cvt_f32_f64_e32 v1, v[2:3]
	global_store_dwordx2 v[6:7], v[0:1], off
	global_load_dwordx2 v[8:9], v64, s[8:9] offset:4000
	v_add_u32_e32 v2, 0xc00, v64
	ds_read2_b64 v[2:5], v2 offset0:116 offset1:216
	v_lshl_add_u64 v[0:1], s[8:9], 0, v[64:65]
	v_mad_u64_u32 v[6:7], s[6:7], s4, v12, v[6:7]
	v_add_co_u32_e32 v10, vcc, s3, v0
	v_add_u32_e32 v7, s2, v7
	s_nop 0
	v_addc_co_u32_e32 v11, vcc, 0, v1, vcc
	s_movk_i32 s3, 0x2000
	s_waitcnt vmcnt(0) lgkmcnt(0)
	v_mul_f32_e32 v13, v3, v9
	v_mul_f32_e32 v9, v2, v9
	v_fmac_f32_e32 v13, v2, v8
	v_fma_f32 v8, v8, v3, -v9
	v_cvt_f64_f32_e32 v[2:3], v13
	v_cvt_f64_f32_e32 v[8:9], v8
	v_mul_f64 v[2:3], v[2:3], s[0:1]
	v_mul_f64 v[8:9], v[8:9], s[0:1]
	v_cvt_f32_f64_e32 v2, v[2:3]
	v_cvt_f32_f64_e32 v3, v[8:9]
	global_store_dwordx2 v[6:7], v[2:3], off
	global_load_dwordx2 v[2:3], v[10:11], off offset:704
	v_mad_u64_u32 v[6:7], s[6:7], s4, v12, v[6:7]
	v_add_u32_e32 v7, s2, v7
	s_waitcnt vmcnt(0)
	v_mul_f32_e32 v8, v5, v3
	v_mul_f32_e32 v3, v4, v3
	v_fmac_f32_e32 v8, v4, v2
	v_fma_f32 v4, v2, v5, -v3
	v_cvt_f64_f32_e32 v[2:3], v8
	v_cvt_f64_f32_e32 v[4:5], v4
	v_mul_f64 v[2:3], v[2:3], s[0:1]
	v_mul_f64 v[4:5], v[4:5], s[0:1]
	v_cvt_f32_f64_e32 v2, v[2:3]
	v_cvt_f32_f64_e32 v3, v[4:5]
	global_store_dwordx2 v[6:7], v[2:3], off
	global_load_dwordx2 v[8:9], v[10:11], off offset:1504
	ds_read2_b64 v[2:5], v17 offset0:60 offset1:160
	v_mad_u64_u32 v[6:7], s[6:7], s4, v12, v[6:7]
	v_add_u32_e32 v7, s2, v7
	s_waitcnt vmcnt(0) lgkmcnt(0)
	v_mul_f32_e32 v13, v3, v9
	v_mul_f32_e32 v9, v2, v9
	v_fmac_f32_e32 v13, v2, v8
	v_fma_f32 v8, v8, v3, -v9
	v_cvt_f64_f32_e32 v[2:3], v13
	v_cvt_f64_f32_e32 v[8:9], v8
	v_mul_f64 v[2:3], v[2:3], s[0:1]
	v_mul_f64 v[8:9], v[8:9], s[0:1]
	v_cvt_f32_f64_e32 v2, v[2:3]
	v_cvt_f32_f64_e32 v3, v[8:9]
	global_store_dwordx2 v[6:7], v[2:3], off
	global_load_dwordx2 v[2:3], v[10:11], off offset:2304
	v_mad_u64_u32 v[6:7], s[6:7], s4, v12, v[6:7]
	v_add_u32_e32 v7, s2, v7
	s_waitcnt vmcnt(0)
	v_mul_f32_e32 v8, v5, v3
	v_mul_f32_e32 v3, v4, v3
	v_fmac_f32_e32 v8, v4, v2
	v_fma_f32 v4, v2, v5, -v3
	v_cvt_f64_f32_e32 v[2:3], v8
	v_cvt_f64_f32_e32 v[4:5], v4
	v_mul_f64 v[2:3], v[2:3], s[0:1]
	v_mul_f64 v[4:5], v[4:5], s[0:1]
	v_cvt_f32_f64_e32 v2, v[2:3]
	v_cvt_f32_f64_e32 v3, v[4:5]
	global_store_dwordx2 v[6:7], v[2:3], off
	global_load_dwordx2 v[8:9], v[10:11], off offset:3104
	v_add_u32_e32 v2, 0x1800, v64
	ds_read2_b64 v[2:5], v2 offset0:132 offset1:232
	v_mad_u64_u32 v[6:7], s[6:7], s4, v12, v[6:7]
	v_add_u32_e32 v7, s2, v7
	s_waitcnt vmcnt(0) lgkmcnt(0)
	v_mul_f32_e32 v13, v3, v9
	v_mul_f32_e32 v9, v2, v9
	v_fmac_f32_e32 v13, v2, v8
	v_fma_f32 v8, v8, v3, -v9
	v_cvt_f64_f32_e32 v[2:3], v13
	v_cvt_f64_f32_e32 v[8:9], v8
	v_mul_f64 v[2:3], v[2:3], s[0:1]
	v_mul_f64 v[8:9], v[8:9], s[0:1]
	v_cvt_f32_f64_e32 v2, v[2:3]
	v_cvt_f32_f64_e32 v3, v[8:9]
	global_store_dwordx2 v[6:7], v[2:3], off
	global_load_dwordx2 v[2:3], v[10:11], off offset:3904
	v_mad_u64_u32 v[6:7], s[6:7], s4, v12, v[6:7]
	v_add_co_u32_e32 v8, vcc, s3, v0
	v_add_u32_e32 v7, s2, v7
	s_nop 0
	v_addc_co_u32_e32 v9, vcc, 0, v1, vcc
	s_movk_i32 s3, 0x3000
	v_add_co_u32_e32 v0, vcc, s3, v0
	s_waitcnt vmcnt(0)
	v_mul_f32_e32 v10, v5, v3
	v_mul_f32_e32 v3, v4, v3
	v_fmac_f32_e32 v10, v4, v2
	v_fma_f32 v4, v2, v5, -v3
	v_cvt_f64_f32_e32 v[2:3], v10
	v_cvt_f64_f32_e32 v[4:5], v4
	v_mul_f64 v[2:3], v[2:3], s[0:1]
	v_mul_f64 v[4:5], v[4:5], s[0:1]
	v_cvt_f32_f64_e32 v2, v[2:3]
	v_cvt_f32_f64_e32 v3, v[4:5]
	global_store_dwordx2 v[6:7], v[2:3], off
	global_load_dwordx2 v[10:11], v[8:9], off offset:608
	v_add_u32_e32 v2, 0x2000, v64
	ds_read2_b64 v[2:5], v2 offset0:76 offset1:176
	v_mad_u64_u32 v[6:7], s[6:7], s4, v12, v[6:7]
	v_add_u32_e32 v7, s2, v7
	v_addc_co_u32_e32 v1, vcc, 0, v1, vcc
	s_waitcnt vmcnt(0) lgkmcnt(0)
	v_mul_f32_e32 v13, v3, v11
	v_mul_f32_e32 v11, v2, v11
	v_fmac_f32_e32 v13, v2, v10
	v_fma_f32 v10, v10, v3, -v11
	v_cvt_f64_f32_e32 v[2:3], v13
	v_cvt_f64_f32_e32 v[10:11], v10
	v_mul_f64 v[2:3], v[2:3], s[0:1]
	v_mul_f64 v[10:11], v[10:11], s[0:1]
	v_cvt_f32_f64_e32 v2, v[2:3]
	v_cvt_f32_f64_e32 v3, v[10:11]
	global_store_dwordx2 v[6:7], v[2:3], off
	global_load_dwordx2 v[2:3], v[8:9], off offset:1408
	v_mad_u64_u32 v[6:7], s[6:7], s4, v12, v[6:7]
	v_add_u32_e32 v7, s2, v7
	s_waitcnt vmcnt(0)
	v_mul_f32_e32 v10, v5, v3
	v_mul_f32_e32 v3, v4, v3
	v_fmac_f32_e32 v10, v4, v2
	v_fma_f32 v4, v2, v5, -v3
	v_cvt_f64_f32_e32 v[2:3], v10
	v_cvt_f64_f32_e32 v[4:5], v4
	v_mul_f64 v[2:3], v[2:3], s[0:1]
	v_mul_f64 v[4:5], v[4:5], s[0:1]
	v_cvt_f32_f64_e32 v2, v[2:3]
	v_cvt_f32_f64_e32 v3, v[4:5]
	global_store_dwordx2 v[6:7], v[2:3], off
	global_load_dwordx2 v[10:11], v[8:9], off offset:2208
	ds_read2_b64 v[2:5], v16 offset0:20 offset1:120
	v_mad_u64_u32 v[6:7], s[6:7], s4, v12, v[6:7]
	v_add_u32_e32 v7, s2, v7
	s_waitcnt vmcnt(0) lgkmcnt(0)
	v_mul_f32_e32 v13, v3, v11
	v_mul_f32_e32 v11, v2, v11
	v_fmac_f32_e32 v13, v2, v10
	v_fma_f32 v10, v10, v3, -v11
	v_cvt_f64_f32_e32 v[2:3], v13
	v_cvt_f64_f32_e32 v[10:11], v10
	v_mul_f64 v[2:3], v[2:3], s[0:1]
	v_mul_f64 v[10:11], v[10:11], s[0:1]
	v_cvt_f32_f64_e32 v2, v[2:3]
	v_cvt_f32_f64_e32 v3, v[10:11]
	global_store_dwordx2 v[6:7], v[2:3], off
	global_load_dwordx2 v[2:3], v[8:9], off offset:3008
	v_mad_u64_u32 v[6:7], s[6:7], s4, v12, v[6:7]
	v_add_u32_e32 v7, s2, v7
	s_waitcnt vmcnt(0)
	v_mul_f32_e32 v10, v5, v3
	v_mul_f32_e32 v3, v4, v3
	v_fmac_f32_e32 v10, v4, v2
	v_fma_f32 v4, v2, v5, -v3
	v_cvt_f64_f32_e32 v[2:3], v10
	v_cvt_f64_f32_e32 v[4:5], v4
	v_mul_f64 v[2:3], v[2:3], s[0:1]
	v_mul_f64 v[4:5], v[4:5], s[0:1]
	v_cvt_f32_f64_e32 v2, v[2:3]
	v_cvt_f32_f64_e32 v3, v[4:5]
	global_store_dwordx2 v[6:7], v[2:3], off
	global_load_dwordx2 v[8:9], v[8:9], off offset:3808
	v_add_u32_e32 v2, 0x2c00, v64
	ds_read2_b64 v[2:5], v2 offset0:92 offset1:192
	v_mad_u64_u32 v[6:7], s[6:7], s4, v12, v[6:7]
	v_add_u32_e32 v7, s2, v7
	s_waitcnt vmcnt(0) lgkmcnt(0)
	v_mul_f32_e32 v10, v3, v9
	v_mul_f32_e32 v9, v2, v9
	v_fmac_f32_e32 v10, v2, v8
	v_fma_f32 v8, v8, v3, -v9
	v_cvt_f64_f32_e32 v[2:3], v10
	v_cvt_f64_f32_e32 v[8:9], v8
	v_mul_f64 v[2:3], v[2:3], s[0:1]
	v_mul_f64 v[8:9], v[8:9], s[0:1]
	v_cvt_f32_f64_e32 v2, v[2:3]
	v_cvt_f32_f64_e32 v3, v[8:9]
	global_store_dwordx2 v[6:7], v[2:3], off
	global_load_dwordx2 v[0:1], v[0:1], off offset:512
	v_mad_u64_u32 v[2:3], s[4:5], s4, v12, v[6:7]
	v_add_u32_e32 v3, s2, v3
	s_waitcnt vmcnt(0)
	v_mul_f32_e32 v6, v5, v1
	v_mul_f32_e32 v1, v4, v1
	v_fmac_f32_e32 v6, v4, v0
	v_fma_f32 v4, v0, v5, -v1
	v_cvt_f64_f32_e32 v[0:1], v6
	v_cvt_f64_f32_e32 v[4:5], v4
	v_mul_f64 v[0:1], v[0:1], s[0:1]
	v_mul_f64 v[4:5], v[4:5], s[0:1]
	v_cvt_f32_f64_e32 v0, v[0:1]
	v_cvt_f32_f64_e32 v1, v[4:5]
	global_store_dwordx2 v[2:3], v[0:1], off
.LBB0_15:
	s_endpgm
	.section	.rodata,"a",@progbits
	.p2align	6, 0x0
	.amdhsa_kernel bluestein_single_fwd_len1700_dim1_sp_op_CI_CI
		.amdhsa_group_segment_fixed_size 13600
		.amdhsa_private_segment_fixed_size 0
		.amdhsa_kernarg_size 104
		.amdhsa_user_sgpr_count 2
		.amdhsa_user_sgpr_dispatch_ptr 0
		.amdhsa_user_sgpr_queue_ptr 0
		.amdhsa_user_sgpr_kernarg_segment_ptr 1
		.amdhsa_user_sgpr_dispatch_id 0
		.amdhsa_user_sgpr_kernarg_preload_length 0
		.amdhsa_user_sgpr_kernarg_preload_offset 0
		.amdhsa_user_sgpr_private_segment_size 0
		.amdhsa_uses_dynamic_stack 0
		.amdhsa_enable_private_segment 0
		.amdhsa_system_sgpr_workgroup_id_x 1
		.amdhsa_system_sgpr_workgroup_id_y 0
		.amdhsa_system_sgpr_workgroup_id_z 0
		.amdhsa_system_sgpr_workgroup_info 0
		.amdhsa_system_vgpr_workitem_id 0
		.amdhsa_next_free_vgpr 300
		.amdhsa_next_free_sgpr 62
		.amdhsa_accum_offset 256
		.amdhsa_reserve_vcc 1
		.amdhsa_float_round_mode_32 0
		.amdhsa_float_round_mode_16_64 0
		.amdhsa_float_denorm_mode_32 3
		.amdhsa_float_denorm_mode_16_64 3
		.amdhsa_dx10_clamp 1
		.amdhsa_ieee_mode 1
		.amdhsa_fp16_overflow 0
		.amdhsa_tg_split 0
		.amdhsa_exception_fp_ieee_invalid_op 0
		.amdhsa_exception_fp_denorm_src 0
		.amdhsa_exception_fp_ieee_div_zero 0
		.amdhsa_exception_fp_ieee_overflow 0
		.amdhsa_exception_fp_ieee_underflow 0
		.amdhsa_exception_fp_ieee_inexact 0
		.amdhsa_exception_int_div_zero 0
	.end_amdhsa_kernel
	.text
.Lfunc_end0:
	.size	bluestein_single_fwd_len1700_dim1_sp_op_CI_CI, .Lfunc_end0-bluestein_single_fwd_len1700_dim1_sp_op_CI_CI
                                        ; -- End function
	.section	.AMDGPU.csdata,"",@progbits
; Kernel info:
; codeLenInByte = 18116
; NumSgprs: 68
; NumVgprs: 256
; NumAgprs: 44
; TotalNumVgprs: 300
; ScratchSize: 0
; MemoryBound: 0
; FloatMode: 240
; IeeeMode: 1
; LDSByteSize: 13600 bytes/workgroup (compile time only)
; SGPRBlocks: 8
; VGPRBlocks: 37
; NumSGPRsForWavesPerEU: 68
; NumVGPRsForWavesPerEU: 300
; AccumOffset: 256
; Occupancy: 1
; WaveLimiterHint : 1
; COMPUTE_PGM_RSRC2:SCRATCH_EN: 0
; COMPUTE_PGM_RSRC2:USER_SGPR: 2
; COMPUTE_PGM_RSRC2:TRAP_HANDLER: 0
; COMPUTE_PGM_RSRC2:TGID_X_EN: 1
; COMPUTE_PGM_RSRC2:TGID_Y_EN: 0
; COMPUTE_PGM_RSRC2:TGID_Z_EN: 0
; COMPUTE_PGM_RSRC2:TIDIG_COMP_CNT: 0
; COMPUTE_PGM_RSRC3_GFX90A:ACCUM_OFFSET: 63
; COMPUTE_PGM_RSRC3_GFX90A:TG_SPLIT: 0
	.text
	.p2alignl 6, 3212836864
	.fill 256, 4, 3212836864
	.type	__hip_cuid_c878c6c5bec25073,@object ; @__hip_cuid_c878c6c5bec25073
	.section	.bss,"aw",@nobits
	.globl	__hip_cuid_c878c6c5bec25073
__hip_cuid_c878c6c5bec25073:
	.byte	0                               ; 0x0
	.size	__hip_cuid_c878c6c5bec25073, 1

	.ident	"AMD clang version 19.0.0git (https://github.com/RadeonOpenCompute/llvm-project roc-6.4.0 25133 c7fe45cf4b819c5991fe208aaa96edf142730f1d)"
	.section	".note.GNU-stack","",@progbits
	.addrsig
	.addrsig_sym __hip_cuid_c878c6c5bec25073
	.amdgpu_metadata
---
amdhsa.kernels:
  - .agpr_count:     44
    .args:
      - .actual_access:  read_only
        .address_space:  global
        .offset:         0
        .size:           8
        .value_kind:     global_buffer
      - .actual_access:  read_only
        .address_space:  global
        .offset:         8
        .size:           8
        .value_kind:     global_buffer
      - .actual_access:  read_only
        .address_space:  global
        .offset:         16
        .size:           8
        .value_kind:     global_buffer
      - .actual_access:  read_only
        .address_space:  global
        .offset:         24
        .size:           8
        .value_kind:     global_buffer
      - .actual_access:  read_only
        .address_space:  global
        .offset:         32
        .size:           8
        .value_kind:     global_buffer
      - .offset:         40
        .size:           8
        .value_kind:     by_value
      - .address_space:  global
        .offset:         48
        .size:           8
        .value_kind:     global_buffer
      - .address_space:  global
        .offset:         56
        .size:           8
        .value_kind:     global_buffer
      - .address_space:  global
        .offset:         64
        .size:           8
        .value_kind:     global_buffer
      - .address_space:  global
        .offset:         72
        .size:           8
        .value_kind:     global_buffer
      - .offset:         80
        .size:           4
        .value_kind:     by_value
      - .address_space:  global
        .offset:         88
        .size:           8
        .value_kind:     global_buffer
      - .address_space:  global
        .offset:         96
        .size:           8
        .value_kind:     global_buffer
    .group_segment_fixed_size: 13600
    .kernarg_segment_align: 8
    .kernarg_segment_size: 104
    .language:       OpenCL C
    .language_version:
      - 2
      - 0
    .max_flat_workgroup_size: 170
    .name:           bluestein_single_fwd_len1700_dim1_sp_op_CI_CI
    .private_segment_fixed_size: 0
    .sgpr_count:     68
    .sgpr_spill_count: 0
    .symbol:         bluestein_single_fwd_len1700_dim1_sp_op_CI_CI.kd
    .uniform_work_group_size: 1
    .uses_dynamic_stack: false
    .vgpr_count:     300
    .vgpr_spill_count: 0
    .wavefront_size: 64
amdhsa.target:   amdgcn-amd-amdhsa--gfx950
amdhsa.version:
  - 1
  - 2
...

	.end_amdgpu_metadata
